;; amdgpu-corpus repo=ROCm/rocSPARSE kind=compiled arch=gfx90a opt=O3
	.text
	.amdgcn_target "amdgcn-amd-amdhsa--gfx90a"
	.amdhsa_code_object_version 6
	.section	.text._ZN9rocsparseL12csrgemm_copyILj1024EiiEEvT0_PKT1_PS2_21rocsparse_index_base_S6_,"axG",@progbits,_ZN9rocsparseL12csrgemm_copyILj1024EiiEEvT0_PKT1_PS2_21rocsparse_index_base_S6_,comdat
	.globl	_ZN9rocsparseL12csrgemm_copyILj1024EiiEEvT0_PKT1_PS2_21rocsparse_index_base_S6_ ; -- Begin function _ZN9rocsparseL12csrgemm_copyILj1024EiiEEvT0_PKT1_PS2_21rocsparse_index_base_S6_
	.p2align	8
	.type	_ZN9rocsparseL12csrgemm_copyILj1024EiiEEvT0_PKT1_PS2_21rocsparse_index_base_S6_,@function
_ZN9rocsparseL12csrgemm_copyILj1024EiiEEvT0_PKT1_PS2_21rocsparse_index_base_S6_: ; @_ZN9rocsparseL12csrgemm_copyILj1024EiiEEvT0_PKT1_PS2_21rocsparse_index_base_S6_
; %bb.0:
	s_load_dword s0, s[4:5], 0x0
	v_lshl_or_b32 v0, s6, 10, v0
	s_waitcnt lgkmcnt(0)
	v_cmp_gt_i32_e32 vcc, s0, v0
	s_and_saveexec_b64 s[0:1], vcc
	s_cbranch_execz .LBB0_2
; %bb.1:
	s_load_dwordx4 s[0:3], s[4:5], 0x8
	s_load_dwordx2 s[6:7], s[4:5], 0x18
	v_ashrrev_i32_e32 v1, 31, v0
	v_lshlrev_b64 v[0:1], 2, v[0:1]
	s_waitcnt lgkmcnt(0)
	v_mov_b32_e32 v3, s1
	v_add_co_u32_e32 v2, vcc, s0, v0
	v_addc_co_u32_e32 v3, vcc, v3, v1, vcc
	global_load_dword v2, v[2:3], off
	v_mov_b32_e32 v3, s3
	v_add_co_u32_e32 v0, vcc, s2, v0
	s_sub_i32 s0, s7, s6
	v_addc_co_u32_e32 v1, vcc, v3, v1, vcc
	s_waitcnt vmcnt(0)
	v_add_u32_e32 v2, s0, v2
	global_store_dword v[0:1], v2, off
.LBB0_2:
	s_endpgm
	.section	.rodata,"a",@progbits
	.p2align	6, 0x0
	.amdhsa_kernel _ZN9rocsparseL12csrgemm_copyILj1024EiiEEvT0_PKT1_PS2_21rocsparse_index_base_S6_
		.amdhsa_group_segment_fixed_size 0
		.amdhsa_private_segment_fixed_size 0
		.amdhsa_kernarg_size 32
		.amdhsa_user_sgpr_count 6
		.amdhsa_user_sgpr_private_segment_buffer 1
		.amdhsa_user_sgpr_dispatch_ptr 0
		.amdhsa_user_sgpr_queue_ptr 0
		.amdhsa_user_sgpr_kernarg_segment_ptr 1
		.amdhsa_user_sgpr_dispatch_id 0
		.amdhsa_user_sgpr_flat_scratch_init 0
		.amdhsa_user_sgpr_kernarg_preload_length 0
		.amdhsa_user_sgpr_kernarg_preload_offset 0
		.amdhsa_user_sgpr_private_segment_size 0
		.amdhsa_uses_dynamic_stack 0
		.amdhsa_system_sgpr_private_segment_wavefront_offset 0
		.amdhsa_system_sgpr_workgroup_id_x 1
		.amdhsa_system_sgpr_workgroup_id_y 0
		.amdhsa_system_sgpr_workgroup_id_z 0
		.amdhsa_system_sgpr_workgroup_info 0
		.amdhsa_system_vgpr_workitem_id 0
		.amdhsa_next_free_vgpr 4
		.amdhsa_next_free_sgpr 8
		.amdhsa_accum_offset 4
		.amdhsa_reserve_vcc 1
		.amdhsa_reserve_flat_scratch 0
		.amdhsa_float_round_mode_32 0
		.amdhsa_float_round_mode_16_64 0
		.amdhsa_float_denorm_mode_32 3
		.amdhsa_float_denorm_mode_16_64 3
		.amdhsa_dx10_clamp 1
		.amdhsa_ieee_mode 1
		.amdhsa_fp16_overflow 0
		.amdhsa_tg_split 0
		.amdhsa_exception_fp_ieee_invalid_op 0
		.amdhsa_exception_fp_denorm_src 0
		.amdhsa_exception_fp_ieee_div_zero 0
		.amdhsa_exception_fp_ieee_overflow 0
		.amdhsa_exception_fp_ieee_underflow 0
		.amdhsa_exception_fp_ieee_inexact 0
		.amdhsa_exception_int_div_zero 0
	.end_amdhsa_kernel
	.section	.text._ZN9rocsparseL12csrgemm_copyILj1024EiiEEvT0_PKT1_PS2_21rocsparse_index_base_S6_,"axG",@progbits,_ZN9rocsparseL12csrgemm_copyILj1024EiiEEvT0_PKT1_PS2_21rocsparse_index_base_S6_,comdat
.Lfunc_end0:
	.size	_ZN9rocsparseL12csrgemm_copyILj1024EiiEEvT0_PKT1_PS2_21rocsparse_index_base_S6_, .Lfunc_end0-_ZN9rocsparseL12csrgemm_copyILj1024EiiEEvT0_PKT1_PS2_21rocsparse_index_base_S6_
                                        ; -- End function
	.section	.AMDGPU.csdata,"",@progbits
; Kernel info:
; codeLenInByte = 120
; NumSgprs: 12
; NumVgprs: 4
; NumAgprs: 0
; TotalNumVgprs: 4
; ScratchSize: 0
; MemoryBound: 0
; FloatMode: 240
; IeeeMode: 1
; LDSByteSize: 0 bytes/workgroup (compile time only)
; SGPRBlocks: 1
; VGPRBlocks: 0
; NumSGPRsForWavesPerEU: 12
; NumVGPRsForWavesPerEU: 4
; AccumOffset: 4
; Occupancy: 8
; WaveLimiterHint : 0
; COMPUTE_PGM_RSRC2:SCRATCH_EN: 0
; COMPUTE_PGM_RSRC2:USER_SGPR: 6
; COMPUTE_PGM_RSRC2:TRAP_HANDLER: 0
; COMPUTE_PGM_RSRC2:TGID_X_EN: 1
; COMPUTE_PGM_RSRC2:TGID_Y_EN: 0
; COMPUTE_PGM_RSRC2:TGID_Z_EN: 0
; COMPUTE_PGM_RSRC2:TIDIG_COMP_CNT: 0
; COMPUTE_PGM_RSRC3_GFX90A:ACCUM_OFFSET: 0
; COMPUTE_PGM_RSRC3_GFX90A:TG_SPLIT: 0
	.section	.text._ZN9rocsparseL18csrgemm_copy_scaleILj1024EifEEvT0_NS_24const_host_device_scalarIT1_EEPKS3_PS3_b,"axG",@progbits,_ZN9rocsparseL18csrgemm_copy_scaleILj1024EifEEvT0_NS_24const_host_device_scalarIT1_EEPKS3_PS3_b,comdat
	.globl	_ZN9rocsparseL18csrgemm_copy_scaleILj1024EifEEvT0_NS_24const_host_device_scalarIT1_EEPKS3_PS3_b ; -- Begin function _ZN9rocsparseL18csrgemm_copy_scaleILj1024EifEEvT0_NS_24const_host_device_scalarIT1_EEPKS3_PS3_b
	.p2align	8
	.type	_ZN9rocsparseL18csrgemm_copy_scaleILj1024EifEEvT0_NS_24const_host_device_scalarIT1_EEPKS3_PS3_b,@function
_ZN9rocsparseL18csrgemm_copy_scaleILj1024EifEEvT0_NS_24const_host_device_scalarIT1_EEPKS3_PS3_b: ; @_ZN9rocsparseL18csrgemm_copy_scaleILj1024EifEEvT0_NS_24const_host_device_scalarIT1_EEPKS3_PS3_b
; %bb.0:
	s_load_dword s0, s[4:5], 0x0
	v_lshl_or_b32 v0, s6, 10, v0
	s_waitcnt lgkmcnt(0)
	v_cmp_gt_i32_e32 vcc, s0, v0
	s_and_saveexec_b64 s[0:1], vcc
	s_cbranch_execz .LBB1_4
; %bb.1:
	s_load_dword s8, s[4:5], 0x20
	s_load_dwordx4 s[0:3], s[4:5], 0x8
	s_load_dwordx2 s[6:7], s[4:5], 0x18
	s_waitcnt lgkmcnt(0)
	s_bitcmp1_b32 s8, 0
	s_cselect_b64 s[4:5], -1, 0
	s_and_b64 vcc, exec, s[4:5]
	s_cbranch_vccnz .LBB1_3
; %bb.2:
	s_load_dword s0, s[0:1], 0x0
.LBB1_3:
	v_ashrrev_i32_e32 v1, 31, v0
	v_lshlrev_b64 v[0:1], 2, v[0:1]
	v_mov_b32_e32 v3, s3
	v_add_co_u32_e32 v2, vcc, s2, v0
	v_addc_co_u32_e32 v3, vcc, v3, v1, vcc
	global_load_dword v2, v[2:3], off
	v_mov_b32_e32 v3, s7
	v_add_co_u32_e32 v0, vcc, s6, v0
	v_addc_co_u32_e32 v1, vcc, v3, v1, vcc
	s_waitcnt vmcnt(0) lgkmcnt(0)
	v_mul_f32_e32 v2, s0, v2
	global_store_dword v[0:1], v2, off
.LBB1_4:
	s_endpgm
	.section	.rodata,"a",@progbits
	.p2align	6, 0x0
	.amdhsa_kernel _ZN9rocsparseL18csrgemm_copy_scaleILj1024EifEEvT0_NS_24const_host_device_scalarIT1_EEPKS3_PS3_b
		.amdhsa_group_segment_fixed_size 0
		.amdhsa_private_segment_fixed_size 0
		.amdhsa_kernarg_size 36
		.amdhsa_user_sgpr_count 6
		.amdhsa_user_sgpr_private_segment_buffer 1
		.amdhsa_user_sgpr_dispatch_ptr 0
		.amdhsa_user_sgpr_queue_ptr 0
		.amdhsa_user_sgpr_kernarg_segment_ptr 1
		.amdhsa_user_sgpr_dispatch_id 0
		.amdhsa_user_sgpr_flat_scratch_init 0
		.amdhsa_user_sgpr_kernarg_preload_length 0
		.amdhsa_user_sgpr_kernarg_preload_offset 0
		.amdhsa_user_sgpr_private_segment_size 0
		.amdhsa_uses_dynamic_stack 0
		.amdhsa_system_sgpr_private_segment_wavefront_offset 0
		.amdhsa_system_sgpr_workgroup_id_x 1
		.amdhsa_system_sgpr_workgroup_id_y 0
		.amdhsa_system_sgpr_workgroup_id_z 0
		.amdhsa_system_sgpr_workgroup_info 0
		.amdhsa_system_vgpr_workitem_id 0
		.amdhsa_next_free_vgpr 4
		.amdhsa_next_free_sgpr 9
		.amdhsa_accum_offset 4
		.amdhsa_reserve_vcc 1
		.amdhsa_reserve_flat_scratch 0
		.amdhsa_float_round_mode_32 0
		.amdhsa_float_round_mode_16_64 0
		.amdhsa_float_denorm_mode_32 3
		.amdhsa_float_denorm_mode_16_64 3
		.amdhsa_dx10_clamp 1
		.amdhsa_ieee_mode 1
		.amdhsa_fp16_overflow 0
		.amdhsa_tg_split 0
		.amdhsa_exception_fp_ieee_invalid_op 0
		.amdhsa_exception_fp_denorm_src 0
		.amdhsa_exception_fp_ieee_div_zero 0
		.amdhsa_exception_fp_ieee_overflow 0
		.amdhsa_exception_fp_ieee_underflow 0
		.amdhsa_exception_fp_ieee_inexact 0
		.amdhsa_exception_int_div_zero 0
	.end_amdhsa_kernel
	.section	.text._ZN9rocsparseL18csrgemm_copy_scaleILj1024EifEEvT0_NS_24const_host_device_scalarIT1_EEPKS3_PS3_b,"axG",@progbits,_ZN9rocsparseL18csrgemm_copy_scaleILj1024EifEEvT0_NS_24const_host_device_scalarIT1_EEPKS3_PS3_b,comdat
.Lfunc_end1:
	.size	_ZN9rocsparseL18csrgemm_copy_scaleILj1024EifEEvT0_NS_24const_host_device_scalarIT1_EEPKS3_PS3_b, .Lfunc_end1-_ZN9rocsparseL18csrgemm_copy_scaleILj1024EifEEvT0_NS_24const_host_device_scalarIT1_EEPKS3_PS3_b
                                        ; -- End function
	.section	.AMDGPU.csdata,"",@progbits
; Kernel info:
; codeLenInByte = 148
; NumSgprs: 13
; NumVgprs: 4
; NumAgprs: 0
; TotalNumVgprs: 4
; ScratchSize: 0
; MemoryBound: 0
; FloatMode: 240
; IeeeMode: 1
; LDSByteSize: 0 bytes/workgroup (compile time only)
; SGPRBlocks: 1
; VGPRBlocks: 0
; NumSGPRsForWavesPerEU: 13
; NumVGPRsForWavesPerEU: 4
; AccumOffset: 4
; Occupancy: 8
; WaveLimiterHint : 0
; COMPUTE_PGM_RSRC2:SCRATCH_EN: 0
; COMPUTE_PGM_RSRC2:USER_SGPR: 6
; COMPUTE_PGM_RSRC2:TRAP_HANDLER: 0
; COMPUTE_PGM_RSRC2:TGID_X_EN: 1
; COMPUTE_PGM_RSRC2:TGID_Y_EN: 0
; COMPUTE_PGM_RSRC2:TGID_Z_EN: 0
; COMPUTE_PGM_RSRC2:TIDIG_COMP_CNT: 0
; COMPUTE_PGM_RSRC3_GFX90A:ACCUM_OFFSET: 0
; COMPUTE_PGM_RSRC3_GFX90A:TG_SPLIT: 0
	.section	.text._ZN9rocsparseL18csrgemm_copy_scaleILj1024EidEEvT0_NS_24const_host_device_scalarIT1_EEPKS3_PS3_b,"axG",@progbits,_ZN9rocsparseL18csrgemm_copy_scaleILj1024EidEEvT0_NS_24const_host_device_scalarIT1_EEPKS3_PS3_b,comdat
	.globl	_ZN9rocsparseL18csrgemm_copy_scaleILj1024EidEEvT0_NS_24const_host_device_scalarIT1_EEPKS3_PS3_b ; -- Begin function _ZN9rocsparseL18csrgemm_copy_scaleILj1024EidEEvT0_NS_24const_host_device_scalarIT1_EEPKS3_PS3_b
	.p2align	8
	.type	_ZN9rocsparseL18csrgemm_copy_scaleILj1024EidEEvT0_NS_24const_host_device_scalarIT1_EEPKS3_PS3_b,@function
_ZN9rocsparseL18csrgemm_copy_scaleILj1024EidEEvT0_NS_24const_host_device_scalarIT1_EEPKS3_PS3_b: ; @_ZN9rocsparseL18csrgemm_copy_scaleILj1024EidEEvT0_NS_24const_host_device_scalarIT1_EEPKS3_PS3_b
; %bb.0:
	s_load_dword s2, s[4:5], 0x20
	s_load_dwordx2 s[0:1], s[4:5], 0x8
	s_waitcnt lgkmcnt(0)
	s_bitcmp1_b32 s2, 0
	s_cselect_b64 s[2:3], -1, 0
	s_and_b64 vcc, exec, s[2:3]
	v_pk_mov_b32 v[2:3], s[0:1], s[0:1] op_sel:[0,1]
	s_cbranch_vccnz .LBB2_2
; %bb.1:
	v_pk_mov_b32 v[2:3], s[0:1], s[0:1] op_sel:[0,1]
	flat_load_dwordx2 v[2:3], v[2:3]
.LBB2_2:
	s_load_dword s0, s[4:5], 0x0
	v_lshl_or_b32 v0, s6, 10, v0
	s_waitcnt lgkmcnt(0)
	v_cmp_gt_i32_e32 vcc, s0, v0
	s_and_saveexec_b64 s[0:1], vcc
	s_cbranch_execz .LBB2_4
; %bb.3:
	s_load_dwordx4 s[0:3], s[4:5], 0x10
	v_ashrrev_i32_e32 v1, 31, v0
	v_lshlrev_b64 v[0:1], 3, v[0:1]
	s_waitcnt lgkmcnt(0)
	v_mov_b32_e32 v5, s1
	v_add_co_u32_e32 v4, vcc, s0, v0
	v_addc_co_u32_e32 v5, vcc, v5, v1, vcc
	global_load_dwordx2 v[4:5], v[4:5], off
	v_mov_b32_e32 v6, s3
	v_add_co_u32_e32 v0, vcc, s2, v0
	v_addc_co_u32_e32 v1, vcc, v6, v1, vcc
	s_waitcnt vmcnt(0)
	v_mul_f64 v[2:3], v[2:3], v[4:5]
	global_store_dwordx2 v[0:1], v[2:3], off
.LBB2_4:
	s_endpgm
	.section	.rodata,"a",@progbits
	.p2align	6, 0x0
	.amdhsa_kernel _ZN9rocsparseL18csrgemm_copy_scaleILj1024EidEEvT0_NS_24const_host_device_scalarIT1_EEPKS3_PS3_b
		.amdhsa_group_segment_fixed_size 0
		.amdhsa_private_segment_fixed_size 0
		.amdhsa_kernarg_size 36
		.amdhsa_user_sgpr_count 6
		.amdhsa_user_sgpr_private_segment_buffer 1
		.amdhsa_user_sgpr_dispatch_ptr 0
		.amdhsa_user_sgpr_queue_ptr 0
		.amdhsa_user_sgpr_kernarg_segment_ptr 1
		.amdhsa_user_sgpr_dispatch_id 0
		.amdhsa_user_sgpr_flat_scratch_init 0
		.amdhsa_user_sgpr_kernarg_preload_length 0
		.amdhsa_user_sgpr_kernarg_preload_offset 0
		.amdhsa_user_sgpr_private_segment_size 0
		.amdhsa_uses_dynamic_stack 0
		.amdhsa_system_sgpr_private_segment_wavefront_offset 0
		.amdhsa_system_sgpr_workgroup_id_x 1
		.amdhsa_system_sgpr_workgroup_id_y 0
		.amdhsa_system_sgpr_workgroup_id_z 0
		.amdhsa_system_sgpr_workgroup_info 0
		.amdhsa_system_vgpr_workitem_id 0
		.amdhsa_next_free_vgpr 7
		.amdhsa_next_free_sgpr 7
		.amdhsa_accum_offset 8
		.amdhsa_reserve_vcc 1
		.amdhsa_reserve_flat_scratch 0
		.amdhsa_float_round_mode_32 0
		.amdhsa_float_round_mode_16_64 0
		.amdhsa_float_denorm_mode_32 3
		.amdhsa_float_denorm_mode_16_64 3
		.amdhsa_dx10_clamp 1
		.amdhsa_ieee_mode 1
		.amdhsa_fp16_overflow 0
		.amdhsa_tg_split 0
		.amdhsa_exception_fp_ieee_invalid_op 0
		.amdhsa_exception_fp_denorm_src 0
		.amdhsa_exception_fp_ieee_div_zero 0
		.amdhsa_exception_fp_ieee_overflow 0
		.amdhsa_exception_fp_ieee_underflow 0
		.amdhsa_exception_fp_ieee_inexact 0
		.amdhsa_exception_int_div_zero 0
	.end_amdhsa_kernel
	.section	.text._ZN9rocsparseL18csrgemm_copy_scaleILj1024EidEEvT0_NS_24const_host_device_scalarIT1_EEPKS3_PS3_b,"axG",@progbits,_ZN9rocsparseL18csrgemm_copy_scaleILj1024EidEEvT0_NS_24const_host_device_scalarIT1_EEPKS3_PS3_b,comdat
.Lfunc_end2:
	.size	_ZN9rocsparseL18csrgemm_copy_scaleILj1024EidEEvT0_NS_24const_host_device_scalarIT1_EEPKS3_PS3_b, .Lfunc_end2-_ZN9rocsparseL18csrgemm_copy_scaleILj1024EidEEvT0_NS_24const_host_device_scalarIT1_EEPKS3_PS3_b
                                        ; -- End function
	.section	.AMDGPU.csdata,"",@progbits
; Kernel info:
; codeLenInByte = 172
; NumSgprs: 11
; NumVgprs: 7
; NumAgprs: 0
; TotalNumVgprs: 7
; ScratchSize: 0
; MemoryBound: 0
; FloatMode: 240
; IeeeMode: 1
; LDSByteSize: 0 bytes/workgroup (compile time only)
; SGPRBlocks: 1
; VGPRBlocks: 0
; NumSGPRsForWavesPerEU: 11
; NumVGPRsForWavesPerEU: 7
; AccumOffset: 8
; Occupancy: 8
; WaveLimiterHint : 0
; COMPUTE_PGM_RSRC2:SCRATCH_EN: 0
; COMPUTE_PGM_RSRC2:USER_SGPR: 6
; COMPUTE_PGM_RSRC2:TRAP_HANDLER: 0
; COMPUTE_PGM_RSRC2:TGID_X_EN: 1
; COMPUTE_PGM_RSRC2:TGID_Y_EN: 0
; COMPUTE_PGM_RSRC2:TGID_Z_EN: 0
; COMPUTE_PGM_RSRC2:TIDIG_COMP_CNT: 0
; COMPUTE_PGM_RSRC3_GFX90A:ACCUM_OFFSET: 1
; COMPUTE_PGM_RSRC3_GFX90A:TG_SPLIT: 0
	.section	.text._ZN9rocsparseL18csrgemm_copy_scaleILj1024Ei21rocsparse_complex_numIfEEEvT0_NS_24const_host_device_scalarIT1_EEPKS5_PS5_b,"axG",@progbits,_ZN9rocsparseL18csrgemm_copy_scaleILj1024Ei21rocsparse_complex_numIfEEEvT0_NS_24const_host_device_scalarIT1_EEPKS5_PS5_b,comdat
	.globl	_ZN9rocsparseL18csrgemm_copy_scaleILj1024Ei21rocsparse_complex_numIfEEEvT0_NS_24const_host_device_scalarIT1_EEPKS5_PS5_b ; -- Begin function _ZN9rocsparseL18csrgemm_copy_scaleILj1024Ei21rocsparse_complex_numIfEEEvT0_NS_24const_host_device_scalarIT1_EEPKS5_PS5_b
	.p2align	8
	.type	_ZN9rocsparseL18csrgemm_copy_scaleILj1024Ei21rocsparse_complex_numIfEEEvT0_NS_24const_host_device_scalarIT1_EEPKS5_PS5_b,@function
_ZN9rocsparseL18csrgemm_copy_scaleILj1024Ei21rocsparse_complex_numIfEEEvT0_NS_24const_host_device_scalarIT1_EEPKS5_PS5_b: ; @_ZN9rocsparseL18csrgemm_copy_scaleILj1024Ei21rocsparse_complex_numIfEEEvT0_NS_24const_host_device_scalarIT1_EEPKS5_PS5_b
; %bb.0:
	s_load_dword s0, s[4:5], 0x20
	s_load_dwordx2 s[2:3], s[4:5], 0x8
	s_waitcnt lgkmcnt(0)
	s_bitcmp1_b32 s0, 0
	s_cselect_b64 s[0:1], -1, 0
	s_xor_b64 s[8:9], s[0:1], -1
	s_and_b64 vcc, exec, s[0:1]
	s_mov_b32 s0, s2
	s_cbranch_vccnz .LBB3_2
; %bb.1:
	s_load_dword s0, s[2:3], 0x0
.LBB3_2:
	s_andn2_b64 vcc, exec, s[8:9]
	s_cbranch_vccnz .LBB3_4
; %bb.3:
	s_load_dword s3, s[2:3], 0x4
.LBB3_4:
	s_nop 0
	s_load_dword s1, s[4:5], 0x0
	v_lshl_or_b32 v0, s6, 10, v0
	s_waitcnt lgkmcnt(0)
	v_cmp_gt_i32_e32 vcc, s1, v0
	s_and_saveexec_b64 s[6:7], vcc
	s_cbranch_execz .LBB3_6
; %bb.5:
	s_load_dwordx4 s[4:7], s[4:5], 0x10
	v_ashrrev_i32_e32 v1, 31, v0
	v_lshlrev_b64 v[0:1], 3, v[0:1]
	s_mov_b32 s1, s3
	s_xor_b32 s2, s3, 0x80000000
	s_waitcnt lgkmcnt(0)
	v_mov_b32_e32 v3, s5
	v_add_co_u32_e32 v2, vcc, s4, v0
	v_addc_co_u32_e32 v3, vcc, v3, v1, vcc
	global_load_dwordx2 v[2:3], v[2:3], off
	v_mov_b32_e32 v4, s7
	v_add_co_u32_e32 v0, vcc, s6, v0
	s_mov_b32 s3, s0
	v_addc_co_u32_e32 v1, vcc, v4, v1, vcc
	s_waitcnt vmcnt(0)
	v_pk_mul_f32 v[4:5], v[2:3], s[2:3] op_sel:[1,0]
	v_pk_fma_f32 v[2:3], s[0:1], v[2:3], v[4:5] op_sel_hi:[1,0,1]
	global_store_dwordx2 v[0:1], v[2:3], off
.LBB3_6:
	s_endpgm
	.section	.rodata,"a",@progbits
	.p2align	6, 0x0
	.amdhsa_kernel _ZN9rocsparseL18csrgemm_copy_scaleILj1024Ei21rocsparse_complex_numIfEEEvT0_NS_24const_host_device_scalarIT1_EEPKS5_PS5_b
		.amdhsa_group_segment_fixed_size 0
		.amdhsa_private_segment_fixed_size 0
		.amdhsa_kernarg_size 36
		.amdhsa_user_sgpr_count 6
		.amdhsa_user_sgpr_private_segment_buffer 1
		.amdhsa_user_sgpr_dispatch_ptr 0
		.amdhsa_user_sgpr_queue_ptr 0
		.amdhsa_user_sgpr_kernarg_segment_ptr 1
		.amdhsa_user_sgpr_dispatch_id 0
		.amdhsa_user_sgpr_flat_scratch_init 0
		.amdhsa_user_sgpr_kernarg_preload_length 0
		.amdhsa_user_sgpr_kernarg_preload_offset 0
		.amdhsa_user_sgpr_private_segment_size 0
		.amdhsa_uses_dynamic_stack 0
		.amdhsa_system_sgpr_private_segment_wavefront_offset 0
		.amdhsa_system_sgpr_workgroup_id_x 1
		.amdhsa_system_sgpr_workgroup_id_y 0
		.amdhsa_system_sgpr_workgroup_id_z 0
		.amdhsa_system_sgpr_workgroup_info 0
		.amdhsa_system_vgpr_workitem_id 0
		.amdhsa_next_free_vgpr 6
		.amdhsa_next_free_sgpr 10
		.amdhsa_accum_offset 8
		.amdhsa_reserve_vcc 1
		.amdhsa_reserve_flat_scratch 0
		.amdhsa_float_round_mode_32 0
		.amdhsa_float_round_mode_16_64 0
		.amdhsa_float_denorm_mode_32 3
		.amdhsa_float_denorm_mode_16_64 3
		.amdhsa_dx10_clamp 1
		.amdhsa_ieee_mode 1
		.amdhsa_fp16_overflow 0
		.amdhsa_tg_split 0
		.amdhsa_exception_fp_ieee_invalid_op 0
		.amdhsa_exception_fp_denorm_src 0
		.amdhsa_exception_fp_ieee_div_zero 0
		.amdhsa_exception_fp_ieee_overflow 0
		.amdhsa_exception_fp_ieee_underflow 0
		.amdhsa_exception_fp_ieee_inexact 0
		.amdhsa_exception_int_div_zero 0
	.end_amdhsa_kernel
	.section	.text._ZN9rocsparseL18csrgemm_copy_scaleILj1024Ei21rocsparse_complex_numIfEEEvT0_NS_24const_host_device_scalarIT1_EEPKS5_PS5_b,"axG",@progbits,_ZN9rocsparseL18csrgemm_copy_scaleILj1024Ei21rocsparse_complex_numIfEEEvT0_NS_24const_host_device_scalarIT1_EEPKS5_PS5_b,comdat
.Lfunc_end3:
	.size	_ZN9rocsparseL18csrgemm_copy_scaleILj1024Ei21rocsparse_complex_numIfEEEvT0_NS_24const_host_device_scalarIT1_EEPKS5_PS5_b, .Lfunc_end3-_ZN9rocsparseL18csrgemm_copy_scaleILj1024Ei21rocsparse_complex_numIfEEEvT0_NS_24const_host_device_scalarIT1_EEPKS5_PS5_b
                                        ; -- End function
	.section	.AMDGPU.csdata,"",@progbits
; Kernel info:
; codeLenInByte = 208
; NumSgprs: 14
; NumVgprs: 6
; NumAgprs: 0
; TotalNumVgprs: 6
; ScratchSize: 0
; MemoryBound: 0
; FloatMode: 240
; IeeeMode: 1
; LDSByteSize: 0 bytes/workgroup (compile time only)
; SGPRBlocks: 1
; VGPRBlocks: 0
; NumSGPRsForWavesPerEU: 14
; NumVGPRsForWavesPerEU: 6
; AccumOffset: 8
; Occupancy: 8
; WaveLimiterHint : 0
; COMPUTE_PGM_RSRC2:SCRATCH_EN: 0
; COMPUTE_PGM_RSRC2:USER_SGPR: 6
; COMPUTE_PGM_RSRC2:TRAP_HANDLER: 0
; COMPUTE_PGM_RSRC2:TGID_X_EN: 1
; COMPUTE_PGM_RSRC2:TGID_Y_EN: 0
; COMPUTE_PGM_RSRC2:TGID_Z_EN: 0
; COMPUTE_PGM_RSRC2:TIDIG_COMP_CNT: 0
; COMPUTE_PGM_RSRC3_GFX90A:ACCUM_OFFSET: 1
; COMPUTE_PGM_RSRC3_GFX90A:TG_SPLIT: 0
	.section	.text._ZN9rocsparseL18csrgemm_copy_scaleILj1024Ei21rocsparse_complex_numIdEEEvT0_NS_24const_host_device_scalarIT1_EEPKS5_PS5_b,"axG",@progbits,_ZN9rocsparseL18csrgemm_copy_scaleILj1024Ei21rocsparse_complex_numIdEEEvT0_NS_24const_host_device_scalarIT1_EEPKS5_PS5_b,comdat
	.globl	_ZN9rocsparseL18csrgemm_copy_scaleILj1024Ei21rocsparse_complex_numIdEEEvT0_NS_24const_host_device_scalarIT1_EEPKS5_PS5_b ; -- Begin function _ZN9rocsparseL18csrgemm_copy_scaleILj1024Ei21rocsparse_complex_numIdEEEvT0_NS_24const_host_device_scalarIT1_EEPKS5_PS5_b
	.p2align	8
	.type	_ZN9rocsparseL18csrgemm_copy_scaleILj1024Ei21rocsparse_complex_numIdEEEvT0_NS_24const_host_device_scalarIT1_EEPKS5_PS5_b,@function
_ZN9rocsparseL18csrgemm_copy_scaleILj1024Ei21rocsparse_complex_numIdEEEvT0_NS_24const_host_device_scalarIT1_EEPKS5_PS5_b: ; @_ZN9rocsparseL18csrgemm_copy_scaleILj1024Ei21rocsparse_complex_numIdEEEvT0_NS_24const_host_device_scalarIT1_EEPKS5_PS5_b
; %bb.0:
	s_load_dword s9, s[6:7], 0x28
	s_load_dwordx2 s[10:11], s[4:5], 0x4
	s_load_dwordx4 s[0:3], s[6:7], 0x8
	v_and_b32_e32 v4, 0x3ff, v0
	v_bfe_u32 v2, v0, 10, 10
	s_waitcnt lgkmcnt(0)
	s_and_b32 s4, 1, s9
	s_lshr_b32 s5, s10, 16
	s_mul_i32 s5, s5, s11
	v_mul_lo_u32 v1, s5, v4
	s_cmp_eq_u32 s4, 1
	v_mad_u32_u24 v1, v2, s11, v1
	v_bfe_u32 v0, v0, 20, 10
	v_add_lshl_u32 v2, v1, v0, 3
	v_pk_mov_b32 v[0:1], s[0:1], s[0:1] op_sel:[0,1]
	s_cselect_b64 vcc, -1, 0
	ds_write_b64 v2, v[0:1]
	s_mov_b64 s[4:5], src_shared_base
	v_cndmask_b32_e32 v0, v0, v2, vcc
	s_and_b64 vcc, vcc, exec
	s_cselect_b32 s4, s5, s1
	v_mov_b32_e32 v1, s4
	flat_load_dwordx2 v[0:1], v[0:1]
	v_pk_mov_b32 v[2:3], s[2:3], s[2:3] op_sel:[0,1]
	s_cbranch_vccnz .LBB4_2
; %bb.1:
	v_pk_mov_b32 v[2:3], s[0:1], s[0:1] op_sel:[0,1]
	flat_load_dwordx2 v[2:3], v[2:3] offset:8
.LBB4_2:
	s_load_dword s0, s[6:7], 0x0
	v_lshl_or_b32 v4, s8, 10, v4
	s_waitcnt lgkmcnt(0)
	v_cmp_gt_i32_e32 vcc, s0, v4
	s_and_saveexec_b64 s[0:1], vcc
	s_cbranch_execz .LBB4_4
; %bb.3:
	s_load_dwordx4 s[0:3], s[6:7], 0x18
	v_ashrrev_i32_e32 v5, 31, v4
	v_lshlrev_b64 v[12:13], 4, v[4:5]
	s_waitcnt lgkmcnt(0)
	v_mov_b32_e32 v5, s1
	v_add_co_u32_e32 v4, vcc, s0, v12
	v_addc_co_u32_e32 v5, vcc, v5, v13, vcc
	global_load_dwordx4 v[4:7], v[4:5], off
	v_mov_b32_e32 v14, s3
	s_waitcnt vmcnt(0)
	v_mul_f64 v[8:9], v[6:7], -v[2:3]
	v_mul_f64 v[10:11], v[0:1], v[6:7]
	v_fmac_f64_e32 v[8:9], v[0:1], v[4:5]
	v_add_co_u32_e32 v0, vcc, s2, v12
	v_fmac_f64_e32 v[10:11], v[2:3], v[4:5]
	v_addc_co_u32_e32 v1, vcc, v14, v13, vcc
	global_store_dwordx4 v[0:1], v[8:11], off
.LBB4_4:
	s_endpgm
	.section	.rodata,"a",@progbits
	.p2align	6, 0x0
	.amdhsa_kernel _ZN9rocsparseL18csrgemm_copy_scaleILj1024Ei21rocsparse_complex_numIdEEEvT0_NS_24const_host_device_scalarIT1_EEPKS5_PS5_b
		.amdhsa_group_segment_fixed_size 8192
		.amdhsa_private_segment_fixed_size 0
		.amdhsa_kernarg_size 44
		.amdhsa_user_sgpr_count 8
		.amdhsa_user_sgpr_private_segment_buffer 1
		.amdhsa_user_sgpr_dispatch_ptr 1
		.amdhsa_user_sgpr_queue_ptr 0
		.amdhsa_user_sgpr_kernarg_segment_ptr 1
		.amdhsa_user_sgpr_dispatch_id 0
		.amdhsa_user_sgpr_flat_scratch_init 0
		.amdhsa_user_sgpr_kernarg_preload_length 0
		.amdhsa_user_sgpr_kernarg_preload_offset 0
		.amdhsa_user_sgpr_private_segment_size 0
		.amdhsa_uses_dynamic_stack 0
		.amdhsa_system_sgpr_private_segment_wavefront_offset 0
		.amdhsa_system_sgpr_workgroup_id_x 1
		.amdhsa_system_sgpr_workgroup_id_y 0
		.amdhsa_system_sgpr_workgroup_id_z 0
		.amdhsa_system_sgpr_workgroup_info 0
		.amdhsa_system_vgpr_workitem_id 2
		.amdhsa_next_free_vgpr 15
		.amdhsa_next_free_sgpr 12
		.amdhsa_accum_offset 16
		.amdhsa_reserve_vcc 1
		.amdhsa_reserve_flat_scratch 0
		.amdhsa_float_round_mode_32 0
		.amdhsa_float_round_mode_16_64 0
		.amdhsa_float_denorm_mode_32 3
		.amdhsa_float_denorm_mode_16_64 3
		.amdhsa_dx10_clamp 1
		.amdhsa_ieee_mode 1
		.amdhsa_fp16_overflow 0
		.amdhsa_tg_split 0
		.amdhsa_exception_fp_ieee_invalid_op 0
		.amdhsa_exception_fp_denorm_src 0
		.amdhsa_exception_fp_ieee_div_zero 0
		.amdhsa_exception_fp_ieee_overflow 0
		.amdhsa_exception_fp_ieee_underflow 0
		.amdhsa_exception_fp_ieee_inexact 0
		.amdhsa_exception_int_div_zero 0
	.end_amdhsa_kernel
	.section	.text._ZN9rocsparseL18csrgemm_copy_scaleILj1024Ei21rocsparse_complex_numIdEEEvT0_NS_24const_host_device_scalarIT1_EEPKS5_PS5_b,"axG",@progbits,_ZN9rocsparseL18csrgemm_copy_scaleILj1024Ei21rocsparse_complex_numIdEEEvT0_NS_24const_host_device_scalarIT1_EEPKS5_PS5_b,comdat
.Lfunc_end4:
	.size	_ZN9rocsparseL18csrgemm_copy_scaleILj1024Ei21rocsparse_complex_numIdEEEvT0_NS_24const_host_device_scalarIT1_EEPKS5_PS5_b, .Lfunc_end4-_ZN9rocsparseL18csrgemm_copy_scaleILj1024Ei21rocsparse_complex_numIdEEEvT0_NS_24const_host_device_scalarIT1_EEPKS5_PS5_b
                                        ; -- End function
	.section	.AMDGPU.csdata,"",@progbits
; Kernel info:
; codeLenInByte = 296
; NumSgprs: 16
; NumVgprs: 15
; NumAgprs: 0
; TotalNumVgprs: 15
; ScratchSize: 0
; MemoryBound: 0
; FloatMode: 240
; IeeeMode: 1
; LDSByteSize: 8192 bytes/workgroup (compile time only)
; SGPRBlocks: 1
; VGPRBlocks: 1
; NumSGPRsForWavesPerEU: 16
; NumVGPRsForWavesPerEU: 15
; AccumOffset: 16
; Occupancy: 8
; WaveLimiterHint : 0
; COMPUTE_PGM_RSRC2:SCRATCH_EN: 0
; COMPUTE_PGM_RSRC2:USER_SGPR: 8
; COMPUTE_PGM_RSRC2:TRAP_HANDLER: 0
; COMPUTE_PGM_RSRC2:TGID_X_EN: 1
; COMPUTE_PGM_RSRC2:TGID_Y_EN: 0
; COMPUTE_PGM_RSRC2:TGID_Z_EN: 0
; COMPUTE_PGM_RSRC2:TIDIG_COMP_CNT: 2
; COMPUTE_PGM_RSRC3_GFX90A:ACCUM_OFFSET: 3
; COMPUTE_PGM_RSRC3_GFX90A:TG_SPLIT: 0
	.section	.text._ZN9rocsparseL12csrgemm_copyILj1024EliEEvT0_PKT1_PS2_21rocsparse_index_base_S6_,"axG",@progbits,_ZN9rocsparseL12csrgemm_copyILj1024EliEEvT0_PKT1_PS2_21rocsparse_index_base_S6_,comdat
	.globl	_ZN9rocsparseL12csrgemm_copyILj1024EliEEvT0_PKT1_PS2_21rocsparse_index_base_S6_ ; -- Begin function _ZN9rocsparseL12csrgemm_copyILj1024EliEEvT0_PKT1_PS2_21rocsparse_index_base_S6_
	.p2align	8
	.type	_ZN9rocsparseL12csrgemm_copyILj1024EliEEvT0_PKT1_PS2_21rocsparse_index_base_S6_,@function
_ZN9rocsparseL12csrgemm_copyILj1024EliEEvT0_PKT1_PS2_21rocsparse_index_base_S6_: ; @_ZN9rocsparseL12csrgemm_copyILj1024EliEEvT0_PKT1_PS2_21rocsparse_index_base_S6_
; %bb.0:
	s_load_dwordx2 s[0:1], s[4:5], 0x0
	v_lshl_or_b32 v0, s6, 10, v0
	v_mov_b32_e32 v1, 0
	s_waitcnt lgkmcnt(0)
	v_cmp_gt_i64_e32 vcc, s[0:1], v[0:1]
	s_and_saveexec_b64 s[0:1], vcc
	s_cbranch_execz .LBB5_2
; %bb.1:
	s_load_dwordx4 s[0:3], s[4:5], 0x8
	s_load_dwordx2 s[6:7], s[4:5], 0x18
	v_lshlrev_b64 v[0:1], 2, v[0:1]
	s_waitcnt lgkmcnt(0)
	v_mov_b32_e32 v3, s1
	v_add_co_u32_e32 v2, vcc, s0, v0
	v_addc_co_u32_e32 v3, vcc, v3, v1, vcc
	global_load_dword v2, v[2:3], off
	v_mov_b32_e32 v3, s3
	v_add_co_u32_e32 v0, vcc, s2, v0
	s_sub_i32 s0, s7, s6
	v_addc_co_u32_e32 v1, vcc, v3, v1, vcc
	s_waitcnt vmcnt(0)
	v_add_u32_e32 v2, s0, v2
	global_store_dword v[0:1], v2, off
.LBB5_2:
	s_endpgm
	.section	.rodata,"a",@progbits
	.p2align	6, 0x0
	.amdhsa_kernel _ZN9rocsparseL12csrgemm_copyILj1024EliEEvT0_PKT1_PS2_21rocsparse_index_base_S6_
		.amdhsa_group_segment_fixed_size 0
		.amdhsa_private_segment_fixed_size 0
		.amdhsa_kernarg_size 32
		.amdhsa_user_sgpr_count 6
		.amdhsa_user_sgpr_private_segment_buffer 1
		.amdhsa_user_sgpr_dispatch_ptr 0
		.amdhsa_user_sgpr_queue_ptr 0
		.amdhsa_user_sgpr_kernarg_segment_ptr 1
		.amdhsa_user_sgpr_dispatch_id 0
		.amdhsa_user_sgpr_flat_scratch_init 0
		.amdhsa_user_sgpr_kernarg_preload_length 0
		.amdhsa_user_sgpr_kernarg_preload_offset 0
		.amdhsa_user_sgpr_private_segment_size 0
		.amdhsa_uses_dynamic_stack 0
		.amdhsa_system_sgpr_private_segment_wavefront_offset 0
		.amdhsa_system_sgpr_workgroup_id_x 1
		.amdhsa_system_sgpr_workgroup_id_y 0
		.amdhsa_system_sgpr_workgroup_id_z 0
		.amdhsa_system_sgpr_workgroup_info 0
		.amdhsa_system_vgpr_workitem_id 0
		.amdhsa_next_free_vgpr 4
		.amdhsa_next_free_sgpr 8
		.amdhsa_accum_offset 4
		.amdhsa_reserve_vcc 1
		.amdhsa_reserve_flat_scratch 0
		.amdhsa_float_round_mode_32 0
		.amdhsa_float_round_mode_16_64 0
		.amdhsa_float_denorm_mode_32 3
		.amdhsa_float_denorm_mode_16_64 3
		.amdhsa_dx10_clamp 1
		.amdhsa_ieee_mode 1
		.amdhsa_fp16_overflow 0
		.amdhsa_tg_split 0
		.amdhsa_exception_fp_ieee_invalid_op 0
		.amdhsa_exception_fp_denorm_src 0
		.amdhsa_exception_fp_ieee_div_zero 0
		.amdhsa_exception_fp_ieee_overflow 0
		.amdhsa_exception_fp_ieee_underflow 0
		.amdhsa_exception_fp_ieee_inexact 0
		.amdhsa_exception_int_div_zero 0
	.end_amdhsa_kernel
	.section	.text._ZN9rocsparseL12csrgemm_copyILj1024EliEEvT0_PKT1_PS2_21rocsparse_index_base_S6_,"axG",@progbits,_ZN9rocsparseL12csrgemm_copyILj1024EliEEvT0_PKT1_PS2_21rocsparse_index_base_S6_,comdat
.Lfunc_end5:
	.size	_ZN9rocsparseL12csrgemm_copyILj1024EliEEvT0_PKT1_PS2_21rocsparse_index_base_S6_, .Lfunc_end5-_ZN9rocsparseL12csrgemm_copyILj1024EliEEvT0_PKT1_PS2_21rocsparse_index_base_S6_
                                        ; -- End function
	.section	.AMDGPU.csdata,"",@progbits
; Kernel info:
; codeLenInByte = 120
; NumSgprs: 12
; NumVgprs: 4
; NumAgprs: 0
; TotalNumVgprs: 4
; ScratchSize: 0
; MemoryBound: 0
; FloatMode: 240
; IeeeMode: 1
; LDSByteSize: 0 bytes/workgroup (compile time only)
; SGPRBlocks: 1
; VGPRBlocks: 0
; NumSGPRsForWavesPerEU: 12
; NumVGPRsForWavesPerEU: 4
; AccumOffset: 4
; Occupancy: 8
; WaveLimiterHint : 0
; COMPUTE_PGM_RSRC2:SCRATCH_EN: 0
; COMPUTE_PGM_RSRC2:USER_SGPR: 6
; COMPUTE_PGM_RSRC2:TRAP_HANDLER: 0
; COMPUTE_PGM_RSRC2:TGID_X_EN: 1
; COMPUTE_PGM_RSRC2:TGID_Y_EN: 0
; COMPUTE_PGM_RSRC2:TGID_Z_EN: 0
; COMPUTE_PGM_RSRC2:TIDIG_COMP_CNT: 0
; COMPUTE_PGM_RSRC3_GFX90A:ACCUM_OFFSET: 0
; COMPUTE_PGM_RSRC3_GFX90A:TG_SPLIT: 0
	.section	.text._ZN9rocsparseL18csrgemm_copy_scaleILj1024ElfEEvT0_NS_24const_host_device_scalarIT1_EEPKS3_PS3_b,"axG",@progbits,_ZN9rocsparseL18csrgemm_copy_scaleILj1024ElfEEvT0_NS_24const_host_device_scalarIT1_EEPKS3_PS3_b,comdat
	.globl	_ZN9rocsparseL18csrgemm_copy_scaleILj1024ElfEEvT0_NS_24const_host_device_scalarIT1_EEPKS3_PS3_b ; -- Begin function _ZN9rocsparseL18csrgemm_copy_scaleILj1024ElfEEvT0_NS_24const_host_device_scalarIT1_EEPKS3_PS3_b
	.p2align	8
	.type	_ZN9rocsparseL18csrgemm_copy_scaleILj1024ElfEEvT0_NS_24const_host_device_scalarIT1_EEPKS3_PS3_b,@function
_ZN9rocsparseL18csrgemm_copy_scaleILj1024ElfEEvT0_NS_24const_host_device_scalarIT1_EEPKS3_PS3_b: ; @_ZN9rocsparseL18csrgemm_copy_scaleILj1024ElfEEvT0_NS_24const_host_device_scalarIT1_EEPKS3_PS3_b
; %bb.0:
	s_load_dwordx4 s[0:3], s[4:5], 0x0
	v_lshl_or_b32 v0, s6, 10, v0
	v_mov_b32_e32 v1, 0
	s_waitcnt lgkmcnt(0)
	v_cmp_gt_i64_e32 vcc, s[0:1], v[0:1]
	s_and_saveexec_b64 s[0:1], vcc
	s_cbranch_execz .LBB6_4
; %bb.1:
	s_load_dword s0, s[4:5], 0x20
	s_load_dwordx4 s[8:11], s[4:5], 0x10
	s_waitcnt lgkmcnt(0)
	s_bitcmp1_b32 s0, 0
	s_cselect_b64 s[0:1], -1, 0
	s_and_b64 vcc, exec, s[0:1]
	s_cbranch_vccnz .LBB6_3
; %bb.2:
	s_load_dword s2, s[2:3], 0x0
.LBB6_3:
	v_lshlrev_b64 v[0:1], 2, v[0:1]
	v_mov_b32_e32 v3, s9
	v_add_co_u32_e32 v2, vcc, s8, v0
	v_addc_co_u32_e32 v3, vcc, v3, v1, vcc
	global_load_dword v2, v[2:3], off
	v_mov_b32_e32 v3, s11
	v_add_co_u32_e32 v0, vcc, s10, v0
	v_addc_co_u32_e32 v1, vcc, v3, v1, vcc
	s_waitcnt vmcnt(0) lgkmcnt(0)
	v_mul_f32_e32 v2, s2, v2
	global_store_dword v[0:1], v2, off
.LBB6_4:
	s_endpgm
	.section	.rodata,"a",@progbits
	.p2align	6, 0x0
	.amdhsa_kernel _ZN9rocsparseL18csrgemm_copy_scaleILj1024ElfEEvT0_NS_24const_host_device_scalarIT1_EEPKS3_PS3_b
		.amdhsa_group_segment_fixed_size 0
		.amdhsa_private_segment_fixed_size 0
		.amdhsa_kernarg_size 36
		.amdhsa_user_sgpr_count 6
		.amdhsa_user_sgpr_private_segment_buffer 1
		.amdhsa_user_sgpr_dispatch_ptr 0
		.amdhsa_user_sgpr_queue_ptr 0
		.amdhsa_user_sgpr_kernarg_segment_ptr 1
		.amdhsa_user_sgpr_dispatch_id 0
		.amdhsa_user_sgpr_flat_scratch_init 0
		.amdhsa_user_sgpr_kernarg_preload_length 0
		.amdhsa_user_sgpr_kernarg_preload_offset 0
		.amdhsa_user_sgpr_private_segment_size 0
		.amdhsa_uses_dynamic_stack 0
		.amdhsa_system_sgpr_private_segment_wavefront_offset 0
		.amdhsa_system_sgpr_workgroup_id_x 1
		.amdhsa_system_sgpr_workgroup_id_y 0
		.amdhsa_system_sgpr_workgroup_id_z 0
		.amdhsa_system_sgpr_workgroup_info 0
		.amdhsa_system_vgpr_workitem_id 0
		.amdhsa_next_free_vgpr 4
		.amdhsa_next_free_sgpr 12
		.amdhsa_accum_offset 4
		.amdhsa_reserve_vcc 1
		.amdhsa_reserve_flat_scratch 0
		.amdhsa_float_round_mode_32 0
		.amdhsa_float_round_mode_16_64 0
		.amdhsa_float_denorm_mode_32 3
		.amdhsa_float_denorm_mode_16_64 3
		.amdhsa_dx10_clamp 1
		.amdhsa_ieee_mode 1
		.amdhsa_fp16_overflow 0
		.amdhsa_tg_split 0
		.amdhsa_exception_fp_ieee_invalid_op 0
		.amdhsa_exception_fp_denorm_src 0
		.amdhsa_exception_fp_ieee_div_zero 0
		.amdhsa_exception_fp_ieee_overflow 0
		.amdhsa_exception_fp_ieee_underflow 0
		.amdhsa_exception_fp_ieee_inexact 0
		.amdhsa_exception_int_div_zero 0
	.end_amdhsa_kernel
	.section	.text._ZN9rocsparseL18csrgemm_copy_scaleILj1024ElfEEvT0_NS_24const_host_device_scalarIT1_EEPKS3_PS3_b,"axG",@progbits,_ZN9rocsparseL18csrgemm_copy_scaleILj1024ElfEEvT0_NS_24const_host_device_scalarIT1_EEPKS3_PS3_b,comdat
.Lfunc_end6:
	.size	_ZN9rocsparseL18csrgemm_copy_scaleILj1024ElfEEvT0_NS_24const_host_device_scalarIT1_EEPKS3_PS3_b, .Lfunc_end6-_ZN9rocsparseL18csrgemm_copy_scaleILj1024ElfEEvT0_NS_24const_host_device_scalarIT1_EEPKS3_PS3_b
                                        ; -- End function
	.section	.AMDGPU.csdata,"",@progbits
; Kernel info:
; codeLenInByte = 140
; NumSgprs: 16
; NumVgprs: 4
; NumAgprs: 0
; TotalNumVgprs: 4
; ScratchSize: 0
; MemoryBound: 0
; FloatMode: 240
; IeeeMode: 1
; LDSByteSize: 0 bytes/workgroup (compile time only)
; SGPRBlocks: 1
; VGPRBlocks: 0
; NumSGPRsForWavesPerEU: 16
; NumVGPRsForWavesPerEU: 4
; AccumOffset: 4
; Occupancy: 8
; WaveLimiterHint : 0
; COMPUTE_PGM_RSRC2:SCRATCH_EN: 0
; COMPUTE_PGM_RSRC2:USER_SGPR: 6
; COMPUTE_PGM_RSRC2:TRAP_HANDLER: 0
; COMPUTE_PGM_RSRC2:TGID_X_EN: 1
; COMPUTE_PGM_RSRC2:TGID_Y_EN: 0
; COMPUTE_PGM_RSRC2:TGID_Z_EN: 0
; COMPUTE_PGM_RSRC2:TIDIG_COMP_CNT: 0
; COMPUTE_PGM_RSRC3_GFX90A:ACCUM_OFFSET: 0
; COMPUTE_PGM_RSRC3_GFX90A:TG_SPLIT: 0
	.section	.text._ZN9rocsparseL18csrgemm_copy_scaleILj1024EldEEvT0_NS_24const_host_device_scalarIT1_EEPKS3_PS3_b,"axG",@progbits,_ZN9rocsparseL18csrgemm_copy_scaleILj1024EldEEvT0_NS_24const_host_device_scalarIT1_EEPKS3_PS3_b,comdat
	.globl	_ZN9rocsparseL18csrgemm_copy_scaleILj1024EldEEvT0_NS_24const_host_device_scalarIT1_EEPKS3_PS3_b ; -- Begin function _ZN9rocsparseL18csrgemm_copy_scaleILj1024EldEEvT0_NS_24const_host_device_scalarIT1_EEPKS3_PS3_b
	.p2align	8
	.type	_ZN9rocsparseL18csrgemm_copy_scaleILj1024EldEEvT0_NS_24const_host_device_scalarIT1_EEPKS3_PS3_b,@function
_ZN9rocsparseL18csrgemm_copy_scaleILj1024EldEEvT0_NS_24const_host_device_scalarIT1_EEPKS3_PS3_b: ; @_ZN9rocsparseL18csrgemm_copy_scaleILj1024EldEEvT0_NS_24const_host_device_scalarIT1_EEPKS3_PS3_b
; %bb.0:
	s_load_dword s7, s[4:5], 0x20
	s_load_dwordx4 s[0:3], s[4:5], 0x0
	s_waitcnt lgkmcnt(0)
	s_bitcmp1_b32 s7, 0
	s_cselect_b64 s[8:9], -1, 0
	s_and_b64 vcc, exec, s[8:9]
	v_pk_mov_b32 v[2:3], s[2:3], s[2:3] op_sel:[0,1]
	s_cbranch_vccnz .LBB7_2
; %bb.1:
	v_pk_mov_b32 v[2:3], s[2:3], s[2:3] op_sel:[0,1]
	flat_load_dwordx2 v[2:3], v[2:3]
.LBB7_2:
	v_lshl_or_b32 v0, s6, 10, v0
	v_mov_b32_e32 v1, 0
	v_cmp_gt_i64_e32 vcc, s[0:1], v[0:1]
	s_and_saveexec_b64 s[0:1], vcc
	s_cbranch_execz .LBB7_4
; %bb.3:
	s_load_dwordx4 s[0:3], s[4:5], 0x10
	v_lshlrev_b64 v[0:1], 3, v[0:1]
	s_waitcnt lgkmcnt(0)
	v_mov_b32_e32 v5, s1
	v_add_co_u32_e32 v4, vcc, s0, v0
	v_addc_co_u32_e32 v5, vcc, v5, v1, vcc
	global_load_dwordx2 v[4:5], v[4:5], off
	v_mov_b32_e32 v6, s3
	v_add_co_u32_e32 v0, vcc, s2, v0
	v_addc_co_u32_e32 v1, vcc, v6, v1, vcc
	s_waitcnt vmcnt(0)
	v_mul_f64 v[2:3], v[2:3], v[4:5]
	global_store_dwordx2 v[0:1], v[2:3], off
.LBB7_4:
	s_endpgm
	.section	.rodata,"a",@progbits
	.p2align	6, 0x0
	.amdhsa_kernel _ZN9rocsparseL18csrgemm_copy_scaleILj1024EldEEvT0_NS_24const_host_device_scalarIT1_EEPKS3_PS3_b
		.amdhsa_group_segment_fixed_size 0
		.amdhsa_private_segment_fixed_size 0
		.amdhsa_kernarg_size 36
		.amdhsa_user_sgpr_count 6
		.amdhsa_user_sgpr_private_segment_buffer 1
		.amdhsa_user_sgpr_dispatch_ptr 0
		.amdhsa_user_sgpr_queue_ptr 0
		.amdhsa_user_sgpr_kernarg_segment_ptr 1
		.amdhsa_user_sgpr_dispatch_id 0
		.amdhsa_user_sgpr_flat_scratch_init 0
		.amdhsa_user_sgpr_kernarg_preload_length 0
		.amdhsa_user_sgpr_kernarg_preload_offset 0
		.amdhsa_user_sgpr_private_segment_size 0
		.amdhsa_uses_dynamic_stack 0
		.amdhsa_system_sgpr_private_segment_wavefront_offset 0
		.amdhsa_system_sgpr_workgroup_id_x 1
		.amdhsa_system_sgpr_workgroup_id_y 0
		.amdhsa_system_sgpr_workgroup_id_z 0
		.amdhsa_system_sgpr_workgroup_info 0
		.amdhsa_system_vgpr_workitem_id 0
		.amdhsa_next_free_vgpr 7
		.amdhsa_next_free_sgpr 10
		.amdhsa_accum_offset 8
		.amdhsa_reserve_vcc 1
		.amdhsa_reserve_flat_scratch 0
		.amdhsa_float_round_mode_32 0
		.amdhsa_float_round_mode_16_64 0
		.amdhsa_float_denorm_mode_32 3
		.amdhsa_float_denorm_mode_16_64 3
		.amdhsa_dx10_clamp 1
		.amdhsa_ieee_mode 1
		.amdhsa_fp16_overflow 0
		.amdhsa_tg_split 0
		.amdhsa_exception_fp_ieee_invalid_op 0
		.amdhsa_exception_fp_denorm_src 0
		.amdhsa_exception_fp_ieee_div_zero 0
		.amdhsa_exception_fp_ieee_overflow 0
		.amdhsa_exception_fp_ieee_underflow 0
		.amdhsa_exception_fp_ieee_inexact 0
		.amdhsa_exception_int_div_zero 0
	.end_amdhsa_kernel
	.section	.text._ZN9rocsparseL18csrgemm_copy_scaleILj1024EldEEvT0_NS_24const_host_device_scalarIT1_EEPKS3_PS3_b,"axG",@progbits,_ZN9rocsparseL18csrgemm_copy_scaleILj1024EldEEvT0_NS_24const_host_device_scalarIT1_EEPKS3_PS3_b,comdat
.Lfunc_end7:
	.size	_ZN9rocsparseL18csrgemm_copy_scaleILj1024EldEEvT0_NS_24const_host_device_scalarIT1_EEPKS3_PS3_b, .Lfunc_end7-_ZN9rocsparseL18csrgemm_copy_scaleILj1024EldEEvT0_NS_24const_host_device_scalarIT1_EEPKS3_PS3_b
                                        ; -- End function
	.section	.AMDGPU.csdata,"",@progbits
; Kernel info:
; codeLenInByte = 160
; NumSgprs: 14
; NumVgprs: 7
; NumAgprs: 0
; TotalNumVgprs: 7
; ScratchSize: 0
; MemoryBound: 0
; FloatMode: 240
; IeeeMode: 1
; LDSByteSize: 0 bytes/workgroup (compile time only)
; SGPRBlocks: 1
; VGPRBlocks: 0
; NumSGPRsForWavesPerEU: 14
; NumVGPRsForWavesPerEU: 7
; AccumOffset: 8
; Occupancy: 8
; WaveLimiterHint : 0
; COMPUTE_PGM_RSRC2:SCRATCH_EN: 0
; COMPUTE_PGM_RSRC2:USER_SGPR: 6
; COMPUTE_PGM_RSRC2:TRAP_HANDLER: 0
; COMPUTE_PGM_RSRC2:TGID_X_EN: 1
; COMPUTE_PGM_RSRC2:TGID_Y_EN: 0
; COMPUTE_PGM_RSRC2:TGID_Z_EN: 0
; COMPUTE_PGM_RSRC2:TIDIG_COMP_CNT: 0
; COMPUTE_PGM_RSRC3_GFX90A:ACCUM_OFFSET: 1
; COMPUTE_PGM_RSRC3_GFX90A:TG_SPLIT: 0
	.section	.text._ZN9rocsparseL18csrgemm_copy_scaleILj1024El21rocsparse_complex_numIfEEEvT0_NS_24const_host_device_scalarIT1_EEPKS5_PS5_b,"axG",@progbits,_ZN9rocsparseL18csrgemm_copy_scaleILj1024El21rocsparse_complex_numIfEEEvT0_NS_24const_host_device_scalarIT1_EEPKS5_PS5_b,comdat
	.globl	_ZN9rocsparseL18csrgemm_copy_scaleILj1024El21rocsparse_complex_numIfEEEvT0_NS_24const_host_device_scalarIT1_EEPKS5_PS5_b ; -- Begin function _ZN9rocsparseL18csrgemm_copy_scaleILj1024El21rocsparse_complex_numIfEEEvT0_NS_24const_host_device_scalarIT1_EEPKS5_PS5_b
	.p2align	8
	.type	_ZN9rocsparseL18csrgemm_copy_scaleILj1024El21rocsparse_complex_numIfEEEvT0_NS_24const_host_device_scalarIT1_EEPKS5_PS5_b,@function
_ZN9rocsparseL18csrgemm_copy_scaleILj1024El21rocsparse_complex_numIfEEEvT0_NS_24const_host_device_scalarIT1_EEPKS5_PS5_b: ; @_ZN9rocsparseL18csrgemm_copy_scaleILj1024El21rocsparse_complex_numIfEEEvT0_NS_24const_host_device_scalarIT1_EEPKS5_PS5_b
; %bb.0:
	s_load_dword s7, s[4:5], 0x20
	s_load_dwordx4 s[0:3], s[4:5], 0x0
	s_waitcnt lgkmcnt(0)
	s_bitcmp1_b32 s7, 0
	s_cselect_b64 s[8:9], -1, 0
	s_xor_b64 s[10:11], s[8:9], -1
	s_and_b64 vcc, exec, s[8:9]
	s_mov_b32 s8, s2
	s_cbranch_vccnz .LBB8_2
; %bb.1:
	s_load_dword s8, s[2:3], 0x0
.LBB8_2:
	s_andn2_b64 vcc, exec, s[10:11]
	s_cbranch_vccnz .LBB8_4
; %bb.3:
	s_load_dword s3, s[2:3], 0x4
.LBB8_4:
	v_lshl_or_b32 v0, s6, 10, v0
	v_mov_b32_e32 v1, 0
	v_cmp_gt_i64_e32 vcc, s[0:1], v[0:1]
	s_and_saveexec_b64 s[0:1], vcc
	s_cbranch_execz .LBB8_6
; %bb.5:
	s_load_dwordx4 s[4:7], s[4:5], 0x10
	v_lshlrev_b64 v[0:1], 3, v[0:1]
	s_waitcnt lgkmcnt(0)
	s_xor_b32 s0, s3, 0x80000000
	s_mov_b32 s1, s8
	s_mov_b32 s9, s3
	v_mov_b32_e32 v3, s5
	v_add_co_u32_e32 v2, vcc, s4, v0
	v_addc_co_u32_e32 v3, vcc, v3, v1, vcc
	global_load_dwordx2 v[2:3], v[2:3], off
	v_mov_b32_e32 v4, s7
	v_add_co_u32_e32 v0, vcc, s6, v0
	v_addc_co_u32_e32 v1, vcc, v4, v1, vcc
	s_waitcnt vmcnt(0)
	v_pk_mul_f32 v[4:5], v[2:3], s[0:1] op_sel:[1,0]
	v_pk_fma_f32 v[2:3], s[8:9], v[2:3], v[4:5] op_sel_hi:[1,0,1]
	global_store_dwordx2 v[0:1], v[2:3], off
.LBB8_6:
	s_endpgm
	.section	.rodata,"a",@progbits
	.p2align	6, 0x0
	.amdhsa_kernel _ZN9rocsparseL18csrgemm_copy_scaleILj1024El21rocsparse_complex_numIfEEEvT0_NS_24const_host_device_scalarIT1_EEPKS5_PS5_b
		.amdhsa_group_segment_fixed_size 0
		.amdhsa_private_segment_fixed_size 0
		.amdhsa_kernarg_size 36
		.amdhsa_user_sgpr_count 6
		.amdhsa_user_sgpr_private_segment_buffer 1
		.amdhsa_user_sgpr_dispatch_ptr 0
		.amdhsa_user_sgpr_queue_ptr 0
		.amdhsa_user_sgpr_kernarg_segment_ptr 1
		.amdhsa_user_sgpr_dispatch_id 0
		.amdhsa_user_sgpr_flat_scratch_init 0
		.amdhsa_user_sgpr_kernarg_preload_length 0
		.amdhsa_user_sgpr_kernarg_preload_offset 0
		.amdhsa_user_sgpr_private_segment_size 0
		.amdhsa_uses_dynamic_stack 0
		.amdhsa_system_sgpr_private_segment_wavefront_offset 0
		.amdhsa_system_sgpr_workgroup_id_x 1
		.amdhsa_system_sgpr_workgroup_id_y 0
		.amdhsa_system_sgpr_workgroup_id_z 0
		.amdhsa_system_sgpr_workgroup_info 0
		.amdhsa_system_vgpr_workitem_id 0
		.amdhsa_next_free_vgpr 6
		.amdhsa_next_free_sgpr 12
		.amdhsa_accum_offset 8
		.amdhsa_reserve_vcc 1
		.amdhsa_reserve_flat_scratch 0
		.amdhsa_float_round_mode_32 0
		.amdhsa_float_round_mode_16_64 0
		.amdhsa_float_denorm_mode_32 3
		.amdhsa_float_denorm_mode_16_64 3
		.amdhsa_dx10_clamp 1
		.amdhsa_ieee_mode 1
		.amdhsa_fp16_overflow 0
		.amdhsa_tg_split 0
		.amdhsa_exception_fp_ieee_invalid_op 0
		.amdhsa_exception_fp_denorm_src 0
		.amdhsa_exception_fp_ieee_div_zero 0
		.amdhsa_exception_fp_ieee_overflow 0
		.amdhsa_exception_fp_ieee_underflow 0
		.amdhsa_exception_fp_ieee_inexact 0
		.amdhsa_exception_int_div_zero 0
	.end_amdhsa_kernel
	.section	.text._ZN9rocsparseL18csrgemm_copy_scaleILj1024El21rocsparse_complex_numIfEEEvT0_NS_24const_host_device_scalarIT1_EEPKS5_PS5_b,"axG",@progbits,_ZN9rocsparseL18csrgemm_copy_scaleILj1024El21rocsparse_complex_numIfEEEvT0_NS_24const_host_device_scalarIT1_EEPKS5_PS5_b,comdat
.Lfunc_end8:
	.size	_ZN9rocsparseL18csrgemm_copy_scaleILj1024El21rocsparse_complex_numIfEEEvT0_NS_24const_host_device_scalarIT1_EEPKS5_PS5_b, .Lfunc_end8-_ZN9rocsparseL18csrgemm_copy_scaleILj1024El21rocsparse_complex_numIfEEEvT0_NS_24const_host_device_scalarIT1_EEPKS5_PS5_b
                                        ; -- End function
	.section	.AMDGPU.csdata,"",@progbits
; Kernel info:
; codeLenInByte = 192
; NumSgprs: 16
; NumVgprs: 6
; NumAgprs: 0
; TotalNumVgprs: 6
; ScratchSize: 0
; MemoryBound: 0
; FloatMode: 240
; IeeeMode: 1
; LDSByteSize: 0 bytes/workgroup (compile time only)
; SGPRBlocks: 1
; VGPRBlocks: 0
; NumSGPRsForWavesPerEU: 16
; NumVGPRsForWavesPerEU: 6
; AccumOffset: 8
; Occupancy: 8
; WaveLimiterHint : 0
; COMPUTE_PGM_RSRC2:SCRATCH_EN: 0
; COMPUTE_PGM_RSRC2:USER_SGPR: 6
; COMPUTE_PGM_RSRC2:TRAP_HANDLER: 0
; COMPUTE_PGM_RSRC2:TGID_X_EN: 1
; COMPUTE_PGM_RSRC2:TGID_Y_EN: 0
; COMPUTE_PGM_RSRC2:TGID_Z_EN: 0
; COMPUTE_PGM_RSRC2:TIDIG_COMP_CNT: 0
; COMPUTE_PGM_RSRC3_GFX90A:ACCUM_OFFSET: 1
; COMPUTE_PGM_RSRC3_GFX90A:TG_SPLIT: 0
	.section	.text._ZN9rocsparseL18csrgemm_copy_scaleILj1024El21rocsparse_complex_numIdEEEvT0_NS_24const_host_device_scalarIT1_EEPKS5_PS5_b,"axG",@progbits,_ZN9rocsparseL18csrgemm_copy_scaleILj1024El21rocsparse_complex_numIdEEEvT0_NS_24const_host_device_scalarIT1_EEPKS5_PS5_b,comdat
	.globl	_ZN9rocsparseL18csrgemm_copy_scaleILj1024El21rocsparse_complex_numIdEEEvT0_NS_24const_host_device_scalarIT1_EEPKS5_PS5_b ; -- Begin function _ZN9rocsparseL18csrgemm_copy_scaleILj1024El21rocsparse_complex_numIdEEEvT0_NS_24const_host_device_scalarIT1_EEPKS5_PS5_b
	.p2align	8
	.type	_ZN9rocsparseL18csrgemm_copy_scaleILj1024El21rocsparse_complex_numIdEEEvT0_NS_24const_host_device_scalarIT1_EEPKS5_PS5_b,@function
_ZN9rocsparseL18csrgemm_copy_scaleILj1024El21rocsparse_complex_numIdEEEvT0_NS_24const_host_device_scalarIT1_EEPKS5_PS5_b: ; @_ZN9rocsparseL18csrgemm_copy_scaleILj1024El21rocsparse_complex_numIdEEEvT0_NS_24const_host_device_scalarIT1_EEPKS5_PS5_b
; %bb.0:
	s_load_dword s9, s[6:7], 0x28
	s_load_dwordx2 s[10:11], s[4:5], 0x4
	s_load_dwordx4 s[0:3], s[6:7], 0x0
	s_load_dwordx2 s[12:13], s[6:7], 0x10
	v_and_b32_e32 v4, 0x3ff, v0
	s_waitcnt lgkmcnt(0)
	s_and_b32 s4, 1, s9
	s_lshr_b32 s5, s10, 16
	s_mul_i32 s5, s5, s11
	v_mul_lo_u32 v1, s5, v4
	v_bfe_u32 v2, v0, 10, 10
	s_cmp_eq_u32 s4, 1
	v_mad_u32_u24 v1, v2, s11, v1
	v_bfe_u32 v0, v0, 20, 10
	v_add_lshl_u32 v2, v1, v0, 3
	v_pk_mov_b32 v[0:1], s[2:3], s[2:3] op_sel:[0,1]
	s_cselect_b64 vcc, -1, 0
	ds_write_b64 v2, v[0:1]
	s_mov_b64 s[4:5], src_shared_base
	v_cndmask_b32_e32 v0, v0, v2, vcc
	s_and_b64 vcc, vcc, exec
	s_cselect_b32 s4, s5, s3
	v_mov_b32_e32 v1, s4
	flat_load_dwordx2 v[0:1], v[0:1]
	v_pk_mov_b32 v[2:3], s[12:13], s[12:13] op_sel:[0,1]
	s_cbranch_vccnz .LBB9_2
; %bb.1:
	v_pk_mov_b32 v[2:3], s[2:3], s[2:3] op_sel:[0,1]
	flat_load_dwordx2 v[2:3], v[2:3] offset:8
.LBB9_2:
	v_lshl_or_b32 v4, s8, 10, v4
	v_mov_b32_e32 v5, 0
	v_cmp_gt_i64_e32 vcc, s[0:1], v[4:5]
	s_and_saveexec_b64 s[0:1], vcc
	s_cbranch_execz .LBB9_4
; %bb.3:
	s_load_dwordx4 s[0:3], s[6:7], 0x18
	v_lshlrev_b64 v[12:13], 4, v[4:5]
	s_waitcnt lgkmcnt(0)
	v_mov_b32_e32 v5, s1
	v_add_co_u32_e32 v4, vcc, s0, v12
	v_addc_co_u32_e32 v5, vcc, v5, v13, vcc
	global_load_dwordx4 v[4:7], v[4:5], off
	v_mov_b32_e32 v14, s3
	s_waitcnt vmcnt(0)
	v_mul_f64 v[8:9], v[6:7], -v[2:3]
	v_mul_f64 v[10:11], v[0:1], v[6:7]
	v_fmac_f64_e32 v[8:9], v[0:1], v[4:5]
	v_add_co_u32_e32 v0, vcc, s2, v12
	v_fmac_f64_e32 v[10:11], v[2:3], v[4:5]
	v_addc_co_u32_e32 v1, vcc, v14, v13, vcc
	global_store_dwordx4 v[0:1], v[8:11], off
.LBB9_4:
	s_endpgm
	.section	.rodata,"a",@progbits
	.p2align	6, 0x0
	.amdhsa_kernel _ZN9rocsparseL18csrgemm_copy_scaleILj1024El21rocsparse_complex_numIdEEEvT0_NS_24const_host_device_scalarIT1_EEPKS5_PS5_b
		.amdhsa_group_segment_fixed_size 8192
		.amdhsa_private_segment_fixed_size 0
		.amdhsa_kernarg_size 44
		.amdhsa_user_sgpr_count 8
		.amdhsa_user_sgpr_private_segment_buffer 1
		.amdhsa_user_sgpr_dispatch_ptr 1
		.amdhsa_user_sgpr_queue_ptr 0
		.amdhsa_user_sgpr_kernarg_segment_ptr 1
		.amdhsa_user_sgpr_dispatch_id 0
		.amdhsa_user_sgpr_flat_scratch_init 0
		.amdhsa_user_sgpr_kernarg_preload_length 0
		.amdhsa_user_sgpr_kernarg_preload_offset 0
		.amdhsa_user_sgpr_private_segment_size 0
		.amdhsa_uses_dynamic_stack 0
		.amdhsa_system_sgpr_private_segment_wavefront_offset 0
		.amdhsa_system_sgpr_workgroup_id_x 1
		.amdhsa_system_sgpr_workgroup_id_y 0
		.amdhsa_system_sgpr_workgroup_id_z 0
		.amdhsa_system_sgpr_workgroup_info 0
		.amdhsa_system_vgpr_workitem_id 2
		.amdhsa_next_free_vgpr 15
		.amdhsa_next_free_sgpr 14
		.amdhsa_accum_offset 16
		.amdhsa_reserve_vcc 1
		.amdhsa_reserve_flat_scratch 0
		.amdhsa_float_round_mode_32 0
		.amdhsa_float_round_mode_16_64 0
		.amdhsa_float_denorm_mode_32 3
		.amdhsa_float_denorm_mode_16_64 3
		.amdhsa_dx10_clamp 1
		.amdhsa_ieee_mode 1
		.amdhsa_fp16_overflow 0
		.amdhsa_tg_split 0
		.amdhsa_exception_fp_ieee_invalid_op 0
		.amdhsa_exception_fp_denorm_src 0
		.amdhsa_exception_fp_ieee_div_zero 0
		.amdhsa_exception_fp_ieee_overflow 0
		.amdhsa_exception_fp_ieee_underflow 0
		.amdhsa_exception_fp_ieee_inexact 0
		.amdhsa_exception_int_div_zero 0
	.end_amdhsa_kernel
	.section	.text._ZN9rocsparseL18csrgemm_copy_scaleILj1024El21rocsparse_complex_numIdEEEvT0_NS_24const_host_device_scalarIT1_EEPKS5_PS5_b,"axG",@progbits,_ZN9rocsparseL18csrgemm_copy_scaleILj1024El21rocsparse_complex_numIdEEEvT0_NS_24const_host_device_scalarIT1_EEPKS5_PS5_b,comdat
.Lfunc_end9:
	.size	_ZN9rocsparseL18csrgemm_copy_scaleILj1024El21rocsparse_complex_numIdEEEvT0_NS_24const_host_device_scalarIT1_EEPKS5_PS5_b, .Lfunc_end9-_ZN9rocsparseL18csrgemm_copy_scaleILj1024El21rocsparse_complex_numIdEEEvT0_NS_24const_host_device_scalarIT1_EEPKS5_PS5_b
                                        ; -- End function
	.section	.AMDGPU.csdata,"",@progbits
; Kernel info:
; codeLenInByte = 292
; NumSgprs: 18
; NumVgprs: 15
; NumAgprs: 0
; TotalNumVgprs: 15
; ScratchSize: 0
; MemoryBound: 0
; FloatMode: 240
; IeeeMode: 1
; LDSByteSize: 8192 bytes/workgroup (compile time only)
; SGPRBlocks: 2
; VGPRBlocks: 1
; NumSGPRsForWavesPerEU: 18
; NumVGPRsForWavesPerEU: 15
; AccumOffset: 16
; Occupancy: 8
; WaveLimiterHint : 0
; COMPUTE_PGM_RSRC2:SCRATCH_EN: 0
; COMPUTE_PGM_RSRC2:USER_SGPR: 8
; COMPUTE_PGM_RSRC2:TRAP_HANDLER: 0
; COMPUTE_PGM_RSRC2:TGID_X_EN: 1
; COMPUTE_PGM_RSRC2:TGID_Y_EN: 0
; COMPUTE_PGM_RSRC2:TGID_Z_EN: 0
; COMPUTE_PGM_RSRC2:TIDIG_COMP_CNT: 2
; COMPUTE_PGM_RSRC3_GFX90A:ACCUM_OFFSET: 3
; COMPUTE_PGM_RSRC3_GFX90A:TG_SPLIT: 0
	.section	.text._ZN9rocsparseL12csrgemm_copyILj1024EilEEvT0_PKT1_PS2_21rocsparse_index_base_S6_,"axG",@progbits,_ZN9rocsparseL12csrgemm_copyILj1024EilEEvT0_PKT1_PS2_21rocsparse_index_base_S6_,comdat
	.globl	_ZN9rocsparseL12csrgemm_copyILj1024EilEEvT0_PKT1_PS2_21rocsparse_index_base_S6_ ; -- Begin function _ZN9rocsparseL12csrgemm_copyILj1024EilEEvT0_PKT1_PS2_21rocsparse_index_base_S6_
	.p2align	8
	.type	_ZN9rocsparseL12csrgemm_copyILj1024EilEEvT0_PKT1_PS2_21rocsparse_index_base_S6_,@function
_ZN9rocsparseL12csrgemm_copyILj1024EilEEvT0_PKT1_PS2_21rocsparse_index_base_S6_: ; @_ZN9rocsparseL12csrgemm_copyILj1024EilEEvT0_PKT1_PS2_21rocsparse_index_base_S6_
; %bb.0:
	s_load_dword s0, s[4:5], 0x0
	v_lshl_or_b32 v0, s6, 10, v0
	s_waitcnt lgkmcnt(0)
	v_cmp_gt_i32_e32 vcc, s0, v0
	s_and_saveexec_b64 s[0:1], vcc
	s_cbranch_execz .LBB10_2
; %bb.1:
	s_load_dwordx4 s[0:3], s[4:5], 0x8
	s_load_dwordx2 s[6:7], s[4:5], 0x18
	v_ashrrev_i32_e32 v1, 31, v0
	v_lshlrev_b64 v[0:1], 3, v[0:1]
	s_waitcnt lgkmcnt(0)
	v_mov_b32_e32 v3, s1
	v_add_co_u32_e32 v2, vcc, s0, v0
	v_addc_co_u32_e32 v3, vcc, v3, v1, vcc
	global_load_dwordx2 v[2:3], v[2:3], off
	v_mov_b32_e32 v4, s3
	v_add_co_u32_e32 v0, vcc, s2, v0
	s_sub_u32 s0, s7, s6
	v_addc_co_u32_e32 v1, vcc, v4, v1, vcc
	s_subb_u32 s1, 0, 0
	v_mov_b32_e32 v4, s1
	s_waitcnt vmcnt(0)
	v_add_co_u32_e32 v2, vcc, s0, v2
	v_addc_co_u32_e32 v3, vcc, v4, v3, vcc
	global_store_dwordx2 v[0:1], v[2:3], off
.LBB10_2:
	s_endpgm
	.section	.rodata,"a",@progbits
	.p2align	6, 0x0
	.amdhsa_kernel _ZN9rocsparseL12csrgemm_copyILj1024EilEEvT0_PKT1_PS2_21rocsparse_index_base_S6_
		.amdhsa_group_segment_fixed_size 0
		.amdhsa_private_segment_fixed_size 0
		.amdhsa_kernarg_size 32
		.amdhsa_user_sgpr_count 6
		.amdhsa_user_sgpr_private_segment_buffer 1
		.amdhsa_user_sgpr_dispatch_ptr 0
		.amdhsa_user_sgpr_queue_ptr 0
		.amdhsa_user_sgpr_kernarg_segment_ptr 1
		.amdhsa_user_sgpr_dispatch_id 0
		.amdhsa_user_sgpr_flat_scratch_init 0
		.amdhsa_user_sgpr_kernarg_preload_length 0
		.amdhsa_user_sgpr_kernarg_preload_offset 0
		.amdhsa_user_sgpr_private_segment_size 0
		.amdhsa_uses_dynamic_stack 0
		.amdhsa_system_sgpr_private_segment_wavefront_offset 0
		.amdhsa_system_sgpr_workgroup_id_x 1
		.amdhsa_system_sgpr_workgroup_id_y 0
		.amdhsa_system_sgpr_workgroup_id_z 0
		.amdhsa_system_sgpr_workgroup_info 0
		.amdhsa_system_vgpr_workitem_id 0
		.amdhsa_next_free_vgpr 5
		.amdhsa_next_free_sgpr 8
		.amdhsa_accum_offset 8
		.amdhsa_reserve_vcc 1
		.amdhsa_reserve_flat_scratch 0
		.amdhsa_float_round_mode_32 0
		.amdhsa_float_round_mode_16_64 0
		.amdhsa_float_denorm_mode_32 3
		.amdhsa_float_denorm_mode_16_64 3
		.amdhsa_dx10_clamp 1
		.amdhsa_ieee_mode 1
		.amdhsa_fp16_overflow 0
		.amdhsa_tg_split 0
		.amdhsa_exception_fp_ieee_invalid_op 0
		.amdhsa_exception_fp_denorm_src 0
		.amdhsa_exception_fp_ieee_div_zero 0
		.amdhsa_exception_fp_ieee_overflow 0
		.amdhsa_exception_fp_ieee_underflow 0
		.amdhsa_exception_fp_ieee_inexact 0
		.amdhsa_exception_int_div_zero 0
	.end_amdhsa_kernel
	.section	.text._ZN9rocsparseL12csrgemm_copyILj1024EilEEvT0_PKT1_PS2_21rocsparse_index_base_S6_,"axG",@progbits,_ZN9rocsparseL12csrgemm_copyILj1024EilEEvT0_PKT1_PS2_21rocsparse_index_base_S6_,comdat
.Lfunc_end10:
	.size	_ZN9rocsparseL12csrgemm_copyILj1024EilEEvT0_PKT1_PS2_21rocsparse_index_base_S6_, .Lfunc_end10-_ZN9rocsparseL12csrgemm_copyILj1024EilEEvT0_PKT1_PS2_21rocsparse_index_base_S6_
                                        ; -- End function
	.section	.AMDGPU.csdata,"",@progbits
; Kernel info:
; codeLenInByte = 132
; NumSgprs: 12
; NumVgprs: 5
; NumAgprs: 0
; TotalNumVgprs: 5
; ScratchSize: 0
; MemoryBound: 0
; FloatMode: 240
; IeeeMode: 1
; LDSByteSize: 0 bytes/workgroup (compile time only)
; SGPRBlocks: 1
; VGPRBlocks: 0
; NumSGPRsForWavesPerEU: 12
; NumVGPRsForWavesPerEU: 5
; AccumOffset: 8
; Occupancy: 8
; WaveLimiterHint : 0
; COMPUTE_PGM_RSRC2:SCRATCH_EN: 0
; COMPUTE_PGM_RSRC2:USER_SGPR: 6
; COMPUTE_PGM_RSRC2:TRAP_HANDLER: 0
; COMPUTE_PGM_RSRC2:TGID_X_EN: 1
; COMPUTE_PGM_RSRC2:TGID_Y_EN: 0
; COMPUTE_PGM_RSRC2:TGID_Z_EN: 0
; COMPUTE_PGM_RSRC2:TIDIG_COMP_CNT: 0
; COMPUTE_PGM_RSRC3_GFX90A:ACCUM_OFFSET: 1
; COMPUTE_PGM_RSRC3_GFX90A:TG_SPLIT: 0
	.section	.text._ZN9rocsparseL12csrgemm_copyILj1024EllEEvT0_PKT1_PS2_21rocsparse_index_base_S6_,"axG",@progbits,_ZN9rocsparseL12csrgemm_copyILj1024EllEEvT0_PKT1_PS2_21rocsparse_index_base_S6_,comdat
	.globl	_ZN9rocsparseL12csrgemm_copyILj1024EllEEvT0_PKT1_PS2_21rocsparse_index_base_S6_ ; -- Begin function _ZN9rocsparseL12csrgemm_copyILj1024EllEEvT0_PKT1_PS2_21rocsparse_index_base_S6_
	.p2align	8
	.type	_ZN9rocsparseL12csrgemm_copyILj1024EllEEvT0_PKT1_PS2_21rocsparse_index_base_S6_,@function
_ZN9rocsparseL12csrgemm_copyILj1024EllEEvT0_PKT1_PS2_21rocsparse_index_base_S6_: ; @_ZN9rocsparseL12csrgemm_copyILj1024EllEEvT0_PKT1_PS2_21rocsparse_index_base_S6_
; %bb.0:
	s_load_dwordx2 s[0:1], s[4:5], 0x0
	v_lshl_or_b32 v0, s6, 10, v0
	v_mov_b32_e32 v1, 0
	s_waitcnt lgkmcnt(0)
	v_cmp_gt_i64_e32 vcc, s[0:1], v[0:1]
	s_and_saveexec_b64 s[0:1], vcc
	s_cbranch_execz .LBB11_2
; %bb.1:
	s_load_dwordx4 s[0:3], s[4:5], 0x8
	s_load_dwordx2 s[6:7], s[4:5], 0x18
	v_lshlrev_b64 v[0:1], 3, v[0:1]
	s_waitcnt lgkmcnt(0)
	v_mov_b32_e32 v3, s1
	v_add_co_u32_e32 v2, vcc, s0, v0
	v_addc_co_u32_e32 v3, vcc, v3, v1, vcc
	global_load_dwordx2 v[2:3], v[2:3], off
	v_mov_b32_e32 v4, s3
	v_add_co_u32_e32 v0, vcc, s2, v0
	s_sub_u32 s0, s7, s6
	v_addc_co_u32_e32 v1, vcc, v4, v1, vcc
	s_subb_u32 s1, 0, 0
	v_mov_b32_e32 v4, s1
	s_waitcnt vmcnt(0)
	v_add_co_u32_e32 v2, vcc, s0, v2
	v_addc_co_u32_e32 v3, vcc, v4, v3, vcc
	global_store_dwordx2 v[0:1], v[2:3], off
.LBB11_2:
	s_endpgm
	.section	.rodata,"a",@progbits
	.p2align	6, 0x0
	.amdhsa_kernel _ZN9rocsparseL12csrgemm_copyILj1024EllEEvT0_PKT1_PS2_21rocsparse_index_base_S6_
		.amdhsa_group_segment_fixed_size 0
		.amdhsa_private_segment_fixed_size 0
		.amdhsa_kernarg_size 32
		.amdhsa_user_sgpr_count 6
		.amdhsa_user_sgpr_private_segment_buffer 1
		.amdhsa_user_sgpr_dispatch_ptr 0
		.amdhsa_user_sgpr_queue_ptr 0
		.amdhsa_user_sgpr_kernarg_segment_ptr 1
		.amdhsa_user_sgpr_dispatch_id 0
		.amdhsa_user_sgpr_flat_scratch_init 0
		.amdhsa_user_sgpr_kernarg_preload_length 0
		.amdhsa_user_sgpr_kernarg_preload_offset 0
		.amdhsa_user_sgpr_private_segment_size 0
		.amdhsa_uses_dynamic_stack 0
		.amdhsa_system_sgpr_private_segment_wavefront_offset 0
		.amdhsa_system_sgpr_workgroup_id_x 1
		.amdhsa_system_sgpr_workgroup_id_y 0
		.amdhsa_system_sgpr_workgroup_id_z 0
		.amdhsa_system_sgpr_workgroup_info 0
		.amdhsa_system_vgpr_workitem_id 0
		.amdhsa_next_free_vgpr 5
		.amdhsa_next_free_sgpr 8
		.amdhsa_accum_offset 8
		.amdhsa_reserve_vcc 1
		.amdhsa_reserve_flat_scratch 0
		.amdhsa_float_round_mode_32 0
		.amdhsa_float_round_mode_16_64 0
		.amdhsa_float_denorm_mode_32 3
		.amdhsa_float_denorm_mode_16_64 3
		.amdhsa_dx10_clamp 1
		.amdhsa_ieee_mode 1
		.amdhsa_fp16_overflow 0
		.amdhsa_tg_split 0
		.amdhsa_exception_fp_ieee_invalid_op 0
		.amdhsa_exception_fp_denorm_src 0
		.amdhsa_exception_fp_ieee_div_zero 0
		.amdhsa_exception_fp_ieee_overflow 0
		.amdhsa_exception_fp_ieee_underflow 0
		.amdhsa_exception_fp_ieee_inexact 0
		.amdhsa_exception_int_div_zero 0
	.end_amdhsa_kernel
	.section	.text._ZN9rocsparseL12csrgemm_copyILj1024EllEEvT0_PKT1_PS2_21rocsparse_index_base_S6_,"axG",@progbits,_ZN9rocsparseL12csrgemm_copyILj1024EllEEvT0_PKT1_PS2_21rocsparse_index_base_S6_,comdat
.Lfunc_end11:
	.size	_ZN9rocsparseL12csrgemm_copyILj1024EllEEvT0_PKT1_PS2_21rocsparse_index_base_S6_, .Lfunc_end11-_ZN9rocsparseL12csrgemm_copyILj1024EllEEvT0_PKT1_PS2_21rocsparse_index_base_S6_
                                        ; -- End function
	.section	.AMDGPU.csdata,"",@progbits
; Kernel info:
; codeLenInByte = 132
; NumSgprs: 12
; NumVgprs: 5
; NumAgprs: 0
; TotalNumVgprs: 5
; ScratchSize: 0
; MemoryBound: 0
; FloatMode: 240
; IeeeMode: 1
; LDSByteSize: 0 bytes/workgroup (compile time only)
; SGPRBlocks: 1
; VGPRBlocks: 0
; NumSGPRsForWavesPerEU: 12
; NumVGPRsForWavesPerEU: 5
; AccumOffset: 8
; Occupancy: 8
; WaveLimiterHint : 0
; COMPUTE_PGM_RSRC2:SCRATCH_EN: 0
; COMPUTE_PGM_RSRC2:USER_SGPR: 6
; COMPUTE_PGM_RSRC2:TRAP_HANDLER: 0
; COMPUTE_PGM_RSRC2:TGID_X_EN: 1
; COMPUTE_PGM_RSRC2:TGID_Y_EN: 0
; COMPUTE_PGM_RSRC2:TGID_Z_EN: 0
; COMPUTE_PGM_RSRC2:TIDIG_COMP_CNT: 0
; COMPUTE_PGM_RSRC3_GFX90A:ACCUM_OFFSET: 1
; COMPUTE_PGM_RSRC3_GFX90A:TG_SPLIT: 0
	.text
	.p2alignl 6, 3212836864
	.fill 256, 4, 3212836864
	.type	__hip_cuid_c74fb9dc9c0c30e4,@object ; @__hip_cuid_c74fb9dc9c0c30e4
	.section	.bss,"aw",@nobits
	.globl	__hip_cuid_c74fb9dc9c0c30e4
__hip_cuid_c74fb9dc9c0c30e4:
	.byte	0                               ; 0x0
	.size	__hip_cuid_c74fb9dc9c0c30e4, 1

	.ident	"AMD clang version 19.0.0git (https://github.com/RadeonOpenCompute/llvm-project roc-6.4.0 25133 c7fe45cf4b819c5991fe208aaa96edf142730f1d)"
	.section	".note.GNU-stack","",@progbits
	.addrsig
	.addrsig_sym __hip_cuid_c74fb9dc9c0c30e4
	.amdgpu_metadata
---
amdhsa.kernels:
  - .agpr_count:     0
    .args:
      - .offset:         0
        .size:           4
        .value_kind:     by_value
      - .actual_access:  read_only
        .address_space:  global
        .offset:         8
        .size:           8
        .value_kind:     global_buffer
      - .actual_access:  write_only
        .address_space:  global
        .offset:         16
        .size:           8
        .value_kind:     global_buffer
      - .offset:         24
        .size:           4
        .value_kind:     by_value
      - .offset:         28
        .size:           4
        .value_kind:     by_value
    .group_segment_fixed_size: 0
    .kernarg_segment_align: 8
    .kernarg_segment_size: 32
    .language:       OpenCL C
    .language_version:
      - 2
      - 0
    .max_flat_workgroup_size: 1024
    .name:           _ZN9rocsparseL12csrgemm_copyILj1024EiiEEvT0_PKT1_PS2_21rocsparse_index_base_S6_
    .private_segment_fixed_size: 0
    .sgpr_count:     12
    .sgpr_spill_count: 0
    .symbol:         _ZN9rocsparseL12csrgemm_copyILj1024EiiEEvT0_PKT1_PS2_21rocsparse_index_base_S6_.kd
    .uniform_work_group_size: 1
    .uses_dynamic_stack: false
    .vgpr_count:     4
    .vgpr_spill_count: 0
    .wavefront_size: 64
  - .agpr_count:     0
    .args:
      - .offset:         0
        .size:           4
        .value_kind:     by_value
      - .offset:         8
        .size:           8
        .value_kind:     by_value
      - .actual_access:  read_only
        .address_space:  global
        .offset:         16
        .size:           8
        .value_kind:     global_buffer
      - .actual_access:  write_only
        .address_space:  global
        .offset:         24
        .size:           8
        .value_kind:     global_buffer
      - .offset:         32
        .size:           1
        .value_kind:     by_value
    .group_segment_fixed_size: 0
    .kernarg_segment_align: 8
    .kernarg_segment_size: 36
    .language:       OpenCL C
    .language_version:
      - 2
      - 0
    .max_flat_workgroup_size: 1024
    .name:           _ZN9rocsparseL18csrgemm_copy_scaleILj1024EifEEvT0_NS_24const_host_device_scalarIT1_EEPKS3_PS3_b
    .private_segment_fixed_size: 0
    .sgpr_count:     13
    .sgpr_spill_count: 0
    .symbol:         _ZN9rocsparseL18csrgemm_copy_scaleILj1024EifEEvT0_NS_24const_host_device_scalarIT1_EEPKS3_PS3_b.kd
    .uniform_work_group_size: 1
    .uses_dynamic_stack: false
    .vgpr_count:     4
    .vgpr_spill_count: 0
    .wavefront_size: 64
  - .agpr_count:     0
    .args:
      - .offset:         0
        .size:           4
        .value_kind:     by_value
      - .offset:         8
        .size:           8
        .value_kind:     by_value
      - .actual_access:  read_only
        .address_space:  global
        .offset:         16
        .size:           8
        .value_kind:     global_buffer
      - .actual_access:  write_only
        .address_space:  global
        .offset:         24
        .size:           8
        .value_kind:     global_buffer
      - .offset:         32
        .size:           1
        .value_kind:     by_value
    .group_segment_fixed_size: 0
    .kernarg_segment_align: 8
    .kernarg_segment_size: 36
    .language:       OpenCL C
    .language_version:
      - 2
      - 0
    .max_flat_workgroup_size: 1024
    .name:           _ZN9rocsparseL18csrgemm_copy_scaleILj1024EidEEvT0_NS_24const_host_device_scalarIT1_EEPKS3_PS3_b
    .private_segment_fixed_size: 0
    .sgpr_count:     11
    .sgpr_spill_count: 0
    .symbol:         _ZN9rocsparseL18csrgemm_copy_scaleILj1024EidEEvT0_NS_24const_host_device_scalarIT1_EEPKS3_PS3_b.kd
    .uniform_work_group_size: 1
    .uses_dynamic_stack: false
    .vgpr_count:     7
    .vgpr_spill_count: 0
    .wavefront_size: 64
  - .agpr_count:     0
    .args:
      - .offset:         0
        .size:           4
        .value_kind:     by_value
      - .offset:         8
        .size:           8
        .value_kind:     by_value
      - .actual_access:  read_only
        .address_space:  global
        .offset:         16
        .size:           8
        .value_kind:     global_buffer
      - .actual_access:  write_only
        .address_space:  global
        .offset:         24
        .size:           8
        .value_kind:     global_buffer
      - .offset:         32
        .size:           1
        .value_kind:     by_value
    .group_segment_fixed_size: 0
    .kernarg_segment_align: 8
    .kernarg_segment_size: 36
    .language:       OpenCL C
    .language_version:
      - 2
      - 0
    .max_flat_workgroup_size: 1024
    .name:           _ZN9rocsparseL18csrgemm_copy_scaleILj1024Ei21rocsparse_complex_numIfEEEvT0_NS_24const_host_device_scalarIT1_EEPKS5_PS5_b
    .private_segment_fixed_size: 0
    .sgpr_count:     14
    .sgpr_spill_count: 0
    .symbol:         _ZN9rocsparseL18csrgemm_copy_scaleILj1024Ei21rocsparse_complex_numIfEEEvT0_NS_24const_host_device_scalarIT1_EEPKS5_PS5_b.kd
    .uniform_work_group_size: 1
    .uses_dynamic_stack: false
    .vgpr_count:     6
    .vgpr_spill_count: 0
    .wavefront_size: 64
  - .agpr_count:     0
    .args:
      - .offset:         0
        .size:           4
        .value_kind:     by_value
      - .offset:         8
        .size:           16
        .value_kind:     by_value
      - .actual_access:  read_only
        .address_space:  global
        .offset:         24
        .size:           8
        .value_kind:     global_buffer
      - .actual_access:  write_only
        .address_space:  global
        .offset:         32
        .size:           8
        .value_kind:     global_buffer
      - .offset:         40
        .size:           1
        .value_kind:     by_value
    .group_segment_fixed_size: 8192
    .kernarg_segment_align: 8
    .kernarg_segment_size: 44
    .language:       OpenCL C
    .language_version:
      - 2
      - 0
    .max_flat_workgroup_size: 1024
    .name:           _ZN9rocsparseL18csrgemm_copy_scaleILj1024Ei21rocsparse_complex_numIdEEEvT0_NS_24const_host_device_scalarIT1_EEPKS5_PS5_b
    .private_segment_fixed_size: 0
    .sgpr_count:     16
    .sgpr_spill_count: 0
    .symbol:         _ZN9rocsparseL18csrgemm_copy_scaleILj1024Ei21rocsparse_complex_numIdEEEvT0_NS_24const_host_device_scalarIT1_EEPKS5_PS5_b.kd
    .uniform_work_group_size: 1
    .uses_dynamic_stack: false
    .vgpr_count:     15
    .vgpr_spill_count: 0
    .wavefront_size: 64
  - .agpr_count:     0
    .args:
      - .offset:         0
        .size:           8
        .value_kind:     by_value
      - .actual_access:  read_only
        .address_space:  global
        .offset:         8
        .size:           8
        .value_kind:     global_buffer
      - .actual_access:  write_only
        .address_space:  global
        .offset:         16
        .size:           8
        .value_kind:     global_buffer
      - .offset:         24
        .size:           4
        .value_kind:     by_value
      - .offset:         28
        .size:           4
        .value_kind:     by_value
    .group_segment_fixed_size: 0
    .kernarg_segment_align: 8
    .kernarg_segment_size: 32
    .language:       OpenCL C
    .language_version:
      - 2
      - 0
    .max_flat_workgroup_size: 1024
    .name:           _ZN9rocsparseL12csrgemm_copyILj1024EliEEvT0_PKT1_PS2_21rocsparse_index_base_S6_
    .private_segment_fixed_size: 0
    .sgpr_count:     12
    .sgpr_spill_count: 0
    .symbol:         _ZN9rocsparseL12csrgemm_copyILj1024EliEEvT0_PKT1_PS2_21rocsparse_index_base_S6_.kd
    .uniform_work_group_size: 1
    .uses_dynamic_stack: false
    .vgpr_count:     4
    .vgpr_spill_count: 0
    .wavefront_size: 64
  - .agpr_count:     0
    .args:
      - .offset:         0
        .size:           8
        .value_kind:     by_value
      - .offset:         8
        .size:           8
        .value_kind:     by_value
      - .actual_access:  read_only
        .address_space:  global
        .offset:         16
        .size:           8
        .value_kind:     global_buffer
      - .actual_access:  write_only
        .address_space:  global
        .offset:         24
        .size:           8
        .value_kind:     global_buffer
      - .offset:         32
        .size:           1
        .value_kind:     by_value
    .group_segment_fixed_size: 0
    .kernarg_segment_align: 8
    .kernarg_segment_size: 36
    .language:       OpenCL C
    .language_version:
      - 2
      - 0
    .max_flat_workgroup_size: 1024
    .name:           _ZN9rocsparseL18csrgemm_copy_scaleILj1024ElfEEvT0_NS_24const_host_device_scalarIT1_EEPKS3_PS3_b
    .private_segment_fixed_size: 0
    .sgpr_count:     16
    .sgpr_spill_count: 0
    .symbol:         _ZN9rocsparseL18csrgemm_copy_scaleILj1024ElfEEvT0_NS_24const_host_device_scalarIT1_EEPKS3_PS3_b.kd
    .uniform_work_group_size: 1
    .uses_dynamic_stack: false
    .vgpr_count:     4
    .vgpr_spill_count: 0
    .wavefront_size: 64
  - .agpr_count:     0
    .args:
      - .offset:         0
        .size:           8
        .value_kind:     by_value
      - .offset:         8
        .size:           8
        .value_kind:     by_value
      - .actual_access:  read_only
        .address_space:  global
        .offset:         16
        .size:           8
        .value_kind:     global_buffer
      - .actual_access:  write_only
        .address_space:  global
        .offset:         24
        .size:           8
        .value_kind:     global_buffer
      - .offset:         32
        .size:           1
        .value_kind:     by_value
    .group_segment_fixed_size: 0
    .kernarg_segment_align: 8
    .kernarg_segment_size: 36
    .language:       OpenCL C
    .language_version:
      - 2
      - 0
    .max_flat_workgroup_size: 1024
    .name:           _ZN9rocsparseL18csrgemm_copy_scaleILj1024EldEEvT0_NS_24const_host_device_scalarIT1_EEPKS3_PS3_b
    .private_segment_fixed_size: 0
    .sgpr_count:     14
    .sgpr_spill_count: 0
    .symbol:         _ZN9rocsparseL18csrgemm_copy_scaleILj1024EldEEvT0_NS_24const_host_device_scalarIT1_EEPKS3_PS3_b.kd
    .uniform_work_group_size: 1
    .uses_dynamic_stack: false
    .vgpr_count:     7
    .vgpr_spill_count: 0
    .wavefront_size: 64
  - .agpr_count:     0
    .args:
      - .offset:         0
        .size:           8
        .value_kind:     by_value
      - .offset:         8
        .size:           8
        .value_kind:     by_value
      - .actual_access:  read_only
        .address_space:  global
        .offset:         16
        .size:           8
        .value_kind:     global_buffer
      - .actual_access:  write_only
        .address_space:  global
        .offset:         24
        .size:           8
        .value_kind:     global_buffer
      - .offset:         32
        .size:           1
        .value_kind:     by_value
    .group_segment_fixed_size: 0
    .kernarg_segment_align: 8
    .kernarg_segment_size: 36
    .language:       OpenCL C
    .language_version:
      - 2
      - 0
    .max_flat_workgroup_size: 1024
    .name:           _ZN9rocsparseL18csrgemm_copy_scaleILj1024El21rocsparse_complex_numIfEEEvT0_NS_24const_host_device_scalarIT1_EEPKS5_PS5_b
    .private_segment_fixed_size: 0
    .sgpr_count:     16
    .sgpr_spill_count: 0
    .symbol:         _ZN9rocsparseL18csrgemm_copy_scaleILj1024El21rocsparse_complex_numIfEEEvT0_NS_24const_host_device_scalarIT1_EEPKS5_PS5_b.kd
    .uniform_work_group_size: 1
    .uses_dynamic_stack: false
    .vgpr_count:     6
    .vgpr_spill_count: 0
    .wavefront_size: 64
  - .agpr_count:     0
    .args:
      - .offset:         0
        .size:           8
        .value_kind:     by_value
      - .offset:         8
        .size:           16
        .value_kind:     by_value
      - .actual_access:  read_only
        .address_space:  global
        .offset:         24
        .size:           8
        .value_kind:     global_buffer
      - .actual_access:  write_only
        .address_space:  global
        .offset:         32
        .size:           8
        .value_kind:     global_buffer
      - .offset:         40
        .size:           1
        .value_kind:     by_value
    .group_segment_fixed_size: 8192
    .kernarg_segment_align: 8
    .kernarg_segment_size: 44
    .language:       OpenCL C
    .language_version:
      - 2
      - 0
    .max_flat_workgroup_size: 1024
    .name:           _ZN9rocsparseL18csrgemm_copy_scaleILj1024El21rocsparse_complex_numIdEEEvT0_NS_24const_host_device_scalarIT1_EEPKS5_PS5_b
    .private_segment_fixed_size: 0
    .sgpr_count:     18
    .sgpr_spill_count: 0
    .symbol:         _ZN9rocsparseL18csrgemm_copy_scaleILj1024El21rocsparse_complex_numIdEEEvT0_NS_24const_host_device_scalarIT1_EEPKS5_PS5_b.kd
    .uniform_work_group_size: 1
    .uses_dynamic_stack: false
    .vgpr_count:     15
    .vgpr_spill_count: 0
    .wavefront_size: 64
  - .agpr_count:     0
    .args:
      - .offset:         0
        .size:           4
        .value_kind:     by_value
      - .actual_access:  read_only
        .address_space:  global
        .offset:         8
        .size:           8
        .value_kind:     global_buffer
      - .actual_access:  write_only
        .address_space:  global
        .offset:         16
        .size:           8
        .value_kind:     global_buffer
      - .offset:         24
        .size:           4
        .value_kind:     by_value
      - .offset:         28
        .size:           4
        .value_kind:     by_value
    .group_segment_fixed_size: 0
    .kernarg_segment_align: 8
    .kernarg_segment_size: 32
    .language:       OpenCL C
    .language_version:
      - 2
      - 0
    .max_flat_workgroup_size: 1024
    .name:           _ZN9rocsparseL12csrgemm_copyILj1024EilEEvT0_PKT1_PS2_21rocsparse_index_base_S6_
    .private_segment_fixed_size: 0
    .sgpr_count:     12
    .sgpr_spill_count: 0
    .symbol:         _ZN9rocsparseL12csrgemm_copyILj1024EilEEvT0_PKT1_PS2_21rocsparse_index_base_S6_.kd
    .uniform_work_group_size: 1
    .uses_dynamic_stack: false
    .vgpr_count:     5
    .vgpr_spill_count: 0
    .wavefront_size: 64
  - .agpr_count:     0
    .args:
      - .offset:         0
        .size:           8
        .value_kind:     by_value
      - .actual_access:  read_only
        .address_space:  global
        .offset:         8
        .size:           8
        .value_kind:     global_buffer
      - .actual_access:  write_only
        .address_space:  global
        .offset:         16
        .size:           8
        .value_kind:     global_buffer
      - .offset:         24
        .size:           4
        .value_kind:     by_value
      - .offset:         28
        .size:           4
        .value_kind:     by_value
    .group_segment_fixed_size: 0
    .kernarg_segment_align: 8
    .kernarg_segment_size: 32
    .language:       OpenCL C
    .language_version:
      - 2
      - 0
    .max_flat_workgroup_size: 1024
    .name:           _ZN9rocsparseL12csrgemm_copyILj1024EllEEvT0_PKT1_PS2_21rocsparse_index_base_S6_
    .private_segment_fixed_size: 0
    .sgpr_count:     12
    .sgpr_spill_count: 0
    .symbol:         _ZN9rocsparseL12csrgemm_copyILj1024EllEEvT0_PKT1_PS2_21rocsparse_index_base_S6_.kd
    .uniform_work_group_size: 1
    .uses_dynamic_stack: false
    .vgpr_count:     5
    .vgpr_spill_count: 0
    .wavefront_size: 64
amdhsa.target:   amdgcn-amd-amdhsa--gfx90a
amdhsa.version:
  - 1
  - 2
...

	.end_amdgpu_metadata
